;; amdgpu-corpus repo=ROCm/rocFFT kind=compiled arch=gfx1100 opt=O3
	.text
	.amdgcn_target "amdgcn-amd-amdhsa--gfx1100"
	.amdhsa_code_object_version 6
	.protected	fft_rtc_back_len2880_factors_10_6_6_2_2_2_wgs_96_tpt_96_halfLds_sp_op_CI_CI_unitstride_sbrr_dirReg ; -- Begin function fft_rtc_back_len2880_factors_10_6_6_2_2_2_wgs_96_tpt_96_halfLds_sp_op_CI_CI_unitstride_sbrr_dirReg
	.globl	fft_rtc_back_len2880_factors_10_6_6_2_2_2_wgs_96_tpt_96_halfLds_sp_op_CI_CI_unitstride_sbrr_dirReg
	.p2align	8
	.type	fft_rtc_back_len2880_factors_10_6_6_2_2_2_wgs_96_tpt_96_halfLds_sp_op_CI_CI_unitstride_sbrr_dirReg,@function
fft_rtc_back_len2880_factors_10_6_6_2_2_2_wgs_96_tpt_96_halfLds_sp_op_CI_CI_unitstride_sbrr_dirReg: ; @fft_rtc_back_len2880_factors_10_6_6_2_2_2_wgs_96_tpt_96_halfLds_sp_op_CI_CI_unitstride_sbrr_dirReg
; %bb.0:
	s_clause 0x2
	s_load_b128 s[8:11], s[0:1], 0x0
	s_load_b128 s[4:7], s[0:1], 0x58
	;; [unrolled: 1-line block ×3, first 2 shown]
	v_mul_u32_u24_e32 v1, 0x2ab, v0
	v_mov_b32_e32 v17, 0
	v_mov_b32_e32 v18, 0
	s_delay_alu instid0(VALU_DEP_3) | instskip(SKIP_1) | instid1(VALU_DEP_1)
	v_lshrrev_b32_e32 v2, 16, v1
	v_mov_b32_e32 v1, 0
	v_dual_mov_b32 v8, v1 :: v_dual_add_nc_u32 v7, s15, v2
	s_waitcnt lgkmcnt(0)
	v_cmp_lt_u64_e64 s2, s[10:11], 2
	s_delay_alu instid0(VALU_DEP_1)
	s_and_b32 vcc_lo, exec_lo, s2
	s_cbranch_vccnz .LBB0_8
; %bb.1:
	s_load_b64 s[2:3], s[0:1], 0x10
	v_mov_b32_e32 v17, 0
	v_mov_b32_e32 v18, 0
	s_add_u32 s12, s18, 8
	s_addc_u32 s13, s19, 0
	s_add_u32 s14, s16, 8
	s_delay_alu instid0(VALU_DEP_1)
	v_dual_mov_b32 v3, v17 :: v_dual_mov_b32 v4, v18
	s_addc_u32 s15, s17, 0
	s_mov_b64 s[22:23], 1
	s_waitcnt lgkmcnt(0)
	s_add_u32 s20, s2, 8
	s_addc_u32 s21, s3, 0
.LBB0_2:                                ; =>This Inner Loop Header: Depth=1
	s_load_b64 s[24:25], s[20:21], 0x0
                                        ; implicit-def: $vgpr5_vgpr6
	s_mov_b32 s2, exec_lo
	s_waitcnt lgkmcnt(0)
	v_or_b32_e32 v2, s25, v8
	s_delay_alu instid0(VALU_DEP_1)
	v_cmpx_ne_u64_e32 0, v[1:2]
	s_xor_b32 s3, exec_lo, s2
	s_cbranch_execz .LBB0_4
; %bb.3:                                ;   in Loop: Header=BB0_2 Depth=1
	v_cvt_f32_u32_e32 v2, s24
	v_cvt_f32_u32_e32 v5, s25
	s_sub_u32 s2, 0, s24
	s_subb_u32 s26, 0, s25
	s_delay_alu instid0(VALU_DEP_1) | instskip(NEXT) | instid1(VALU_DEP_1)
	v_fmac_f32_e32 v2, 0x4f800000, v5
	v_rcp_f32_e32 v2, v2
	s_waitcnt_depctr 0xfff
	v_mul_f32_e32 v2, 0x5f7ffffc, v2
	s_delay_alu instid0(VALU_DEP_1) | instskip(NEXT) | instid1(VALU_DEP_1)
	v_mul_f32_e32 v5, 0x2f800000, v2
	v_trunc_f32_e32 v5, v5
	s_delay_alu instid0(VALU_DEP_1) | instskip(SKIP_1) | instid1(VALU_DEP_2)
	v_fmac_f32_e32 v2, 0xcf800000, v5
	v_cvt_u32_f32_e32 v5, v5
	v_cvt_u32_f32_e32 v2, v2
	s_delay_alu instid0(VALU_DEP_2) | instskip(NEXT) | instid1(VALU_DEP_2)
	v_mul_lo_u32 v6, s2, v5
	v_mul_hi_u32 v9, s2, v2
	v_mul_lo_u32 v10, s26, v2
	s_delay_alu instid0(VALU_DEP_2) | instskip(SKIP_1) | instid1(VALU_DEP_2)
	v_add_nc_u32_e32 v6, v9, v6
	v_mul_lo_u32 v9, s2, v2
	v_add_nc_u32_e32 v6, v6, v10
	s_delay_alu instid0(VALU_DEP_2) | instskip(NEXT) | instid1(VALU_DEP_2)
	v_mul_hi_u32 v10, v2, v9
	v_mul_lo_u32 v11, v2, v6
	v_mul_hi_u32 v12, v2, v6
	v_mul_hi_u32 v13, v5, v9
	v_mul_lo_u32 v9, v5, v9
	v_mul_hi_u32 v14, v5, v6
	v_mul_lo_u32 v6, v5, v6
	v_add_co_u32 v10, vcc_lo, v10, v11
	v_add_co_ci_u32_e32 v11, vcc_lo, 0, v12, vcc_lo
	s_delay_alu instid0(VALU_DEP_2) | instskip(NEXT) | instid1(VALU_DEP_2)
	v_add_co_u32 v9, vcc_lo, v10, v9
	v_add_co_ci_u32_e32 v9, vcc_lo, v11, v13, vcc_lo
	v_add_co_ci_u32_e32 v10, vcc_lo, 0, v14, vcc_lo
	s_delay_alu instid0(VALU_DEP_2) | instskip(NEXT) | instid1(VALU_DEP_2)
	v_add_co_u32 v6, vcc_lo, v9, v6
	v_add_co_ci_u32_e32 v9, vcc_lo, 0, v10, vcc_lo
	s_delay_alu instid0(VALU_DEP_2) | instskip(NEXT) | instid1(VALU_DEP_2)
	v_add_co_u32 v2, vcc_lo, v2, v6
	v_add_co_ci_u32_e32 v5, vcc_lo, v5, v9, vcc_lo
	s_delay_alu instid0(VALU_DEP_2) | instskip(SKIP_1) | instid1(VALU_DEP_3)
	v_mul_hi_u32 v6, s2, v2
	v_mul_lo_u32 v10, s26, v2
	v_mul_lo_u32 v9, s2, v5
	s_delay_alu instid0(VALU_DEP_1) | instskip(SKIP_1) | instid1(VALU_DEP_2)
	v_add_nc_u32_e32 v6, v6, v9
	v_mul_lo_u32 v9, s2, v2
	v_add_nc_u32_e32 v6, v6, v10
	s_delay_alu instid0(VALU_DEP_2) | instskip(NEXT) | instid1(VALU_DEP_2)
	v_mul_hi_u32 v10, v2, v9
	v_mul_lo_u32 v11, v2, v6
	v_mul_hi_u32 v12, v2, v6
	v_mul_hi_u32 v13, v5, v9
	v_mul_lo_u32 v9, v5, v9
	v_mul_hi_u32 v14, v5, v6
	v_mul_lo_u32 v6, v5, v6
	v_add_co_u32 v10, vcc_lo, v10, v11
	v_add_co_ci_u32_e32 v11, vcc_lo, 0, v12, vcc_lo
	s_delay_alu instid0(VALU_DEP_2) | instskip(NEXT) | instid1(VALU_DEP_2)
	v_add_co_u32 v9, vcc_lo, v10, v9
	v_add_co_ci_u32_e32 v9, vcc_lo, v11, v13, vcc_lo
	v_add_co_ci_u32_e32 v10, vcc_lo, 0, v14, vcc_lo
	s_delay_alu instid0(VALU_DEP_2) | instskip(NEXT) | instid1(VALU_DEP_2)
	v_add_co_u32 v6, vcc_lo, v9, v6
	v_add_co_ci_u32_e32 v9, vcc_lo, 0, v10, vcc_lo
	s_delay_alu instid0(VALU_DEP_2) | instskip(NEXT) | instid1(VALU_DEP_2)
	v_add_co_u32 v2, vcc_lo, v2, v6
	v_add_co_ci_u32_e32 v13, vcc_lo, v5, v9, vcc_lo
	s_delay_alu instid0(VALU_DEP_2) | instskip(SKIP_1) | instid1(VALU_DEP_3)
	v_mul_hi_u32 v14, v7, v2
	v_mad_u64_u32 v[9:10], null, v8, v2, 0
	v_mad_u64_u32 v[5:6], null, v7, v13, 0
	;; [unrolled: 1-line block ×3, first 2 shown]
	s_delay_alu instid0(VALU_DEP_2) | instskip(NEXT) | instid1(VALU_DEP_3)
	v_add_co_u32 v2, vcc_lo, v14, v5
	v_add_co_ci_u32_e32 v5, vcc_lo, 0, v6, vcc_lo
	s_delay_alu instid0(VALU_DEP_2) | instskip(NEXT) | instid1(VALU_DEP_2)
	v_add_co_u32 v2, vcc_lo, v2, v9
	v_add_co_ci_u32_e32 v2, vcc_lo, v5, v10, vcc_lo
	v_add_co_ci_u32_e32 v5, vcc_lo, 0, v12, vcc_lo
	s_delay_alu instid0(VALU_DEP_2) | instskip(NEXT) | instid1(VALU_DEP_2)
	v_add_co_u32 v2, vcc_lo, v2, v11
	v_add_co_ci_u32_e32 v9, vcc_lo, 0, v5, vcc_lo
	s_delay_alu instid0(VALU_DEP_2) | instskip(SKIP_1) | instid1(VALU_DEP_3)
	v_mul_lo_u32 v10, s25, v2
	v_mad_u64_u32 v[5:6], null, s24, v2, 0
	v_mul_lo_u32 v11, s24, v9
	s_delay_alu instid0(VALU_DEP_2) | instskip(NEXT) | instid1(VALU_DEP_2)
	v_sub_co_u32 v5, vcc_lo, v7, v5
	v_add3_u32 v6, v6, v11, v10
	s_delay_alu instid0(VALU_DEP_1) | instskip(NEXT) | instid1(VALU_DEP_1)
	v_sub_nc_u32_e32 v10, v8, v6
	v_subrev_co_ci_u32_e64 v10, s2, s25, v10, vcc_lo
	v_add_co_u32 v11, s2, v2, 2
	s_delay_alu instid0(VALU_DEP_1) | instskip(SKIP_3) | instid1(VALU_DEP_3)
	v_add_co_ci_u32_e64 v12, s2, 0, v9, s2
	v_sub_co_u32 v13, s2, v5, s24
	v_sub_co_ci_u32_e32 v6, vcc_lo, v8, v6, vcc_lo
	v_subrev_co_ci_u32_e64 v10, s2, 0, v10, s2
	v_cmp_le_u32_e32 vcc_lo, s24, v13
	s_delay_alu instid0(VALU_DEP_3) | instskip(SKIP_1) | instid1(VALU_DEP_4)
	v_cmp_eq_u32_e64 s2, s25, v6
	v_cndmask_b32_e64 v13, 0, -1, vcc_lo
	v_cmp_le_u32_e32 vcc_lo, s25, v10
	v_cndmask_b32_e64 v14, 0, -1, vcc_lo
	v_cmp_le_u32_e32 vcc_lo, s24, v5
	;; [unrolled: 2-line block ×3, first 2 shown]
	v_cndmask_b32_e64 v15, 0, -1, vcc_lo
	v_cmp_eq_u32_e32 vcc_lo, s25, v10
	s_delay_alu instid0(VALU_DEP_2) | instskip(SKIP_3) | instid1(VALU_DEP_3)
	v_cndmask_b32_e64 v5, v15, v5, s2
	v_cndmask_b32_e32 v10, v14, v13, vcc_lo
	v_add_co_u32 v13, vcc_lo, v2, 1
	v_add_co_ci_u32_e32 v14, vcc_lo, 0, v9, vcc_lo
	v_cmp_ne_u32_e32 vcc_lo, 0, v10
	s_delay_alu instid0(VALU_DEP_2) | instskip(NEXT) | instid1(VALU_DEP_4)
	v_cndmask_b32_e32 v6, v14, v12, vcc_lo
	v_cndmask_b32_e32 v10, v13, v11, vcc_lo
	v_cmp_ne_u32_e32 vcc_lo, 0, v5
	s_delay_alu instid0(VALU_DEP_3) | instskip(NEXT) | instid1(VALU_DEP_3)
	v_cndmask_b32_e32 v6, v9, v6, vcc_lo
	v_cndmask_b32_e32 v5, v2, v10, vcc_lo
.LBB0_4:                                ;   in Loop: Header=BB0_2 Depth=1
	s_and_not1_saveexec_b32 s2, s3
	s_cbranch_execz .LBB0_6
; %bb.5:                                ;   in Loop: Header=BB0_2 Depth=1
	v_cvt_f32_u32_e32 v2, s24
	s_sub_i32 s3, 0, s24
	s_delay_alu instid0(VALU_DEP_1) | instskip(SKIP_2) | instid1(VALU_DEP_1)
	v_rcp_iflag_f32_e32 v2, v2
	s_waitcnt_depctr 0xfff
	v_mul_f32_e32 v2, 0x4f7ffffe, v2
	v_cvt_u32_f32_e32 v2, v2
	s_delay_alu instid0(VALU_DEP_1) | instskip(NEXT) | instid1(VALU_DEP_1)
	v_mul_lo_u32 v5, s3, v2
	v_mul_hi_u32 v5, v2, v5
	s_delay_alu instid0(VALU_DEP_1) | instskip(NEXT) | instid1(VALU_DEP_1)
	v_add_nc_u32_e32 v2, v2, v5
	v_mul_hi_u32 v2, v7, v2
	s_delay_alu instid0(VALU_DEP_1) | instskip(SKIP_1) | instid1(VALU_DEP_2)
	v_mul_lo_u32 v5, v2, s24
	v_add_nc_u32_e32 v6, 1, v2
	v_sub_nc_u32_e32 v5, v7, v5
	s_delay_alu instid0(VALU_DEP_1) | instskip(SKIP_1) | instid1(VALU_DEP_2)
	v_subrev_nc_u32_e32 v9, s24, v5
	v_cmp_le_u32_e32 vcc_lo, s24, v5
	v_dual_cndmask_b32 v5, v5, v9 :: v_dual_cndmask_b32 v2, v2, v6
	s_delay_alu instid0(VALU_DEP_1) | instskip(NEXT) | instid1(VALU_DEP_2)
	v_cmp_le_u32_e32 vcc_lo, s24, v5
	v_add_nc_u32_e32 v6, 1, v2
	s_delay_alu instid0(VALU_DEP_1)
	v_dual_cndmask_b32 v5, v2, v6 :: v_dual_mov_b32 v6, v1
.LBB0_6:                                ;   in Loop: Header=BB0_2 Depth=1
	s_or_b32 exec_lo, exec_lo, s2
	s_delay_alu instid0(VALU_DEP_1) | instskip(NEXT) | instid1(VALU_DEP_2)
	v_mul_lo_u32 v2, v6, s24
	v_mul_lo_u32 v11, v5, s25
	s_load_b64 s[2:3], s[14:15], 0x0
	v_mad_u64_u32 v[9:10], null, v5, s24, 0
	s_load_b64 s[24:25], s[12:13], 0x0
	s_add_u32 s22, s22, 1
	s_addc_u32 s23, s23, 0
	s_add_u32 s12, s12, 8
	s_addc_u32 s13, s13, 0
	s_add_u32 s14, s14, 8
	s_delay_alu instid0(VALU_DEP_1) | instskip(SKIP_3) | instid1(VALU_DEP_2)
	v_add3_u32 v2, v10, v11, v2
	v_sub_co_u32 v11, vcc_lo, v7, v9
	s_addc_u32 s15, s15, 0
	s_add_u32 s20, s20, 8
	v_sub_co_ci_u32_e32 v2, vcc_lo, v8, v2, vcc_lo
	s_addc_u32 s21, s21, 0
	s_waitcnt lgkmcnt(0)
	s_delay_alu instid0(VALU_DEP_1)
	v_mul_lo_u32 v12, s2, v2
	v_mul_lo_u32 v13, s3, v11
	v_mad_u64_u32 v[7:8], null, s2, v11, v[17:18]
	v_mul_lo_u32 v2, s24, v2
	v_mul_lo_u32 v14, s25, v11
	v_mad_u64_u32 v[9:10], null, s24, v11, v[3:4]
	v_cmp_ge_u64_e64 s2, s[22:23], s[10:11]
	v_add3_u32 v18, v13, v8, v12
	v_mov_b32_e32 v17, v7
	s_delay_alu instid0(VALU_DEP_4)
	v_add3_u32 v4, v14, v10, v2
	v_mov_b32_e32 v3, v9
	s_and_b32 vcc_lo, exec_lo, s2
	s_cbranch_vccnz .LBB0_9
; %bb.7:                                ;   in Loop: Header=BB0_2 Depth=1
	v_dual_mov_b32 v8, v6 :: v_dual_mov_b32 v7, v5
	s_branch .LBB0_2
.LBB0_8:
	v_dual_mov_b32 v3, v17 :: v_dual_mov_b32 v4, v18
	v_dual_mov_b32 v5, v7 :: v_dual_mov_b32 v6, v8
.LBB0_9:
	s_load_b64 s[0:1], s[0:1], 0x28
	v_mul_hi_u32 v11, 0x2aaaaab, v0
	s_lshl_b64 s[10:11], s[10:11], 3
                                        ; implicit-def: $vgpr1
                                        ; implicit-def: $vgpr9
                                        ; implicit-def: $vgpr7
                                        ; implicit-def: $vgpr8
	s_delay_alu instid0(SALU_CYCLE_1) | instskip(SKIP_4) | instid1(VALU_DEP_1)
	s_add_u32 s2, s18, s10
	s_addc_u32 s3, s19, s11
	s_waitcnt lgkmcnt(0)
	v_cmp_gt_u64_e32 vcc_lo, s[0:1], v[5:6]
	v_cmp_le_u64_e64 s0, s[0:1], v[5:6]
	s_and_saveexec_b32 s1, s0
	s_delay_alu instid0(SALU_CYCLE_1)
	s_xor_b32 s0, exec_lo, s1
; %bb.10:
	v_mul_u32_u24_e32 v1, 0x60, v11
	v_mov_b32_e32 v2, 0
                                        ; implicit-def: $vgpr11
                                        ; implicit-def: $vgpr17_vgpr18
	s_delay_alu instid0(VALU_DEP_2) | instskip(NEXT) | instid1(VALU_DEP_2)
	v_sub_nc_u32_e32 v1, v0, v1
	v_mov_b32_e32 v10, v2
                                        ; implicit-def: $vgpr0
	s_delay_alu instid0(VALU_DEP_2)
	v_or_b32_e32 v9, 0x180, v1
	v_or_b32_e32 v7, 0x300, v1
	;; [unrolled: 1-line block ×3, first 2 shown]
; %bb.11:
	s_or_saveexec_b32 s1, s0
                                        ; implicit-def: $vgpr19
                                        ; implicit-def: $vgpr73
                                        ; implicit-def: $vgpr71
                                        ; implicit-def: $vgpr65
                                        ; implicit-def: $vgpr67
                                        ; implicit-def: $vgpr16
                                        ; implicit-def: $vgpr23
                                        ; implicit-def: $vgpr39
                                        ; implicit-def: $vgpr41
                                        ; implicit-def: $vgpr45
                                        ; implicit-def: $vgpr12
                                        ; implicit-def: $vgpr29
                                        ; implicit-def: $vgpr31
                                        ; implicit-def: $vgpr27
                                        ; implicit-def: $vgpr35
                                        ; implicit-def: $vgpr25
                                        ; implicit-def: $vgpr33
                                        ; implicit-def: $vgpr37
                                        ; implicit-def: $vgpr52
                                        ; implicit-def: $vgpr14
                                        ; implicit-def: $vgpr47
                                        ; implicit-def: $vgpr43
                                        ; implicit-def: $vgpr50
                                        ; implicit-def: $vgpr54
                                        ; implicit-def: $vgpr21
                                        ; implicit-def: $vgpr56
                                        ; implicit-def: $vgpr63
                                        ; implicit-def: $vgpr69
                                        ; implicit-def: $vgpr58
                                        ; implicit-def: $vgpr61
	s_delay_alu instid0(SALU_CYCLE_1)
	s_xor_b32 exec_lo, exec_lo, s1
	s_cbranch_execz .LBB0_13
; %bb.12:
	s_add_u32 s10, s16, s10
	s_addc_u32 s11, s17, s11
	v_mul_u32_u24_e32 v9, 0x60, v11
	s_load_b64 s[10:11], s[10:11], 0x0
	v_lshlrev_b64 v[11:12], 3, v[17:18]
	s_waitcnt lgkmcnt(0)
	v_mul_lo_u32 v1, s11, v5
	v_mul_lo_u32 v2, s10, v6
	v_mad_u64_u32 v[7:8], null, s10, v5, 0
	s_delay_alu instid0(VALU_DEP_1) | instskip(SKIP_1) | instid1(VALU_DEP_2)
	v_add3_u32 v8, v8, v2, v1
	v_sub_nc_u32_e32 v1, v0, v9
	v_lshlrev_b64 v[9:10], 3, v[7:8]
	s_delay_alu instid0(VALU_DEP_2) | instskip(SKIP_1) | instid1(VALU_DEP_2)
	v_or_b32_e32 v8, 0x480, v1
	v_lshlrev_b32_e32 v0, 3, v1
	v_lshlrev_b32_e32 v13, 3, v8
	s_delay_alu instid0(VALU_DEP_4) | instskip(NEXT) | instid1(VALU_DEP_1)
	v_add_co_u32 v2, s0, s4, v9
	v_add_co_ci_u32_e64 v7, s0, s5, v10, s0
	s_delay_alu instid0(VALU_DEP_2) | instskip(NEXT) | instid1(VALU_DEP_1)
	v_add_co_u32 v2, s0, v2, v11
	v_add_co_ci_u32_e64 v17, s0, v7, v12, s0
	v_or_b32_e32 v7, 0x4800, v0
	s_delay_alu instid0(VALU_DEP_3) | instskip(NEXT) | instid1(VALU_DEP_1)
	v_add_co_u32 v9, s0, v2, v0
	v_add_co_ci_u32_e64 v10, s0, 0, v17, s0
	v_add_co_u32 v11, s0, v2, v13
	s_delay_alu instid0(VALU_DEP_1) | instskip(SKIP_1) | instid1(VALU_DEP_1)
	v_add_co_ci_u32_e64 v12, s0, 0, v17, s0
	v_add_co_u32 v13, s0, v2, v7
	v_add_co_ci_u32_e64 v14, s0, 0, v17, s0
	v_add_co_u32 v24, s0, 0x1000, v9
	s_delay_alu instid0(VALU_DEP_1) | instskip(SKIP_1) | instid1(VALU_DEP_1)
	v_add_co_ci_u32_e64 v25, s0, 0, v10, s0
	v_add_co_u32 v26, s0, 0x2000, v9
	v_add_co_ci_u32_e64 v27, s0, 0, v10, s0
	v_add_co_u32 v28, s0, 0x3000, v9
	s_delay_alu instid0(VALU_DEP_1) | instskip(SKIP_4) | instid1(VALU_DEP_1)
	v_add_co_ci_u32_e64 v29, s0, 0, v10, s0
	v_add_co_u32 v74, s0, 0x5000, v9
	v_or_b32_e32 v7, 0x3000, v0
	v_add_co_ci_u32_e64 v75, s0, 0, v10, s0
	v_add_co_u32 v32, s0, 0x4000, v9
	v_add_co_ci_u32_e64 v33, s0, 0, v10, s0
	s_delay_alu instid0(VALU_DEP_4)
	v_add_co_u32 v48, s0, v2, v7
	v_or_b32_e32 v7, 0x300, v1
	s_clause 0xb
	global_load_b64 v[18:19], v[9:10], off
	global_load_b64 v[15:16], v[9:10], off offset:768
	global_load_b64 v[20:21], v[9:10], off offset:3072
	;; [unrolled: 1-line block ×4, first 2 shown]
	global_load_b64 v[66:67], v[13:14], off
	global_load_b64 v[55:56], v[74:75], off offset:256
	global_load_b64 v[22:23], v[24:25], off offset:1280
	;; [unrolled: 1-line block ×3, first 2 shown]
	global_load_b64 v[70:71], v[11:12], off
	global_load_b64 v[53:54], v[24:25], off offset:3584
	global_load_b64 v[38:39], v[26:27], off offset:1792
	v_or_b32_e32 v11, 0x5400, v0
	v_add_co_ci_u32_e64 v49, s0, 0, v17, s0
	v_lshlrev_b32_e32 v30, 3, v7
	v_or_b32_e32 v0, 0x3c00, v0
	s_delay_alu instid0(VALU_DEP_4) | instskip(NEXT) | instid1(VALU_DEP_1)
	v_add_co_u32 v34, s0, v2, v11
	v_add_co_ci_u32_e64 v35, s0, 0, v17, s0
	s_clause 0x6
	global_load_b64 v[62:63], v[28:29], off offset:3840
	global_load_b64 v[40:41], v[28:29], off offset:2304
	;; [unrolled: 1-line block ×7, first 2 shown]
	v_add_co_u32 v9, s0, v2, v30
	s_delay_alu instid0(VALU_DEP_1)
	v_add_co_ci_u32_e64 v10, s0, 0, v17, s0
	v_add_co_u32 v24, s0, v2, v0
	v_mov_b32_e32 v2, 0
	v_add_co_ci_u32_e64 v25, s0, 0, v17, s0
	s_clause 0xa
	global_load_b64 v[36:37], v[28:29], off offset:768
	global_load_b64 v[68:69], v[26:27], off offset:3328
	;; [unrolled: 1-line block ×3, first 2 shown]
	global_load_b64 v[28:29], v[9:10], off
	global_load_b64 v[26:27], v[24:25], off
	;; [unrolled: 1-line block ×3, first 2 shown]
	global_load_b64 v[34:35], v[32:33], off offset:3584
	global_load_b64 v[44:45], v[32:33], off offset:2816
	;; [unrolled: 1-line block ×3, first 2 shown]
	global_load_b64 v[49:50], v[48:49], off
	global_load_b64 v[24:25], v[74:75], off offset:1792
	v_or_b32_e32 v9, 0x180, v1
	v_mov_b32_e32 v10, v2
.LBB0_13:
	s_or_b32 exec_lo, exec_lo, s1
	s_waitcnt vmcnt(20)
	v_dual_add_f32 v0, v70, v64 :: v_dual_sub_f32 v59, v71, v65
	s_waitcnt vmcnt(12)
	v_dual_add_f32 v17, v18, v72 :: v_dual_sub_f32 v48, v73, v67
	v_dual_sub_f32 v74, v72, v70 :: v_dual_sub_f32 v77, v70, v72
	s_delay_alu instid0(VALU_DEP_3) | instskip(NEXT) | instid1(VALU_DEP_3)
	v_fma_f32 v75, -0.5, v0, v18
	v_dual_sub_f32 v0, v66, v64 :: v_dual_add_f32 v17, v17, v70
	v_dual_add_f32 v76, v72, v66 :: v_dual_add_f32 v79, v19, v73
	v_lshl_add_u32 v81, v9, 2, 0
	v_cmp_gt_u32_e64 s0, 60, v1
	s_delay_alu instid0(VALU_DEP_4) | instskip(SKIP_3) | instid1(VALU_DEP_4)
	v_dual_add_f32 v17, v17, v64 :: v_dual_fmamk_f32 v78, v48, 0xbf737871, v75
	v_fmac_f32_e32 v75, 0x3f737871, v48
	v_add_f32_e32 v0, v74, v0
	v_sub_f32_e32 v74, v64, v66
	v_dual_add_f32 v17, v17, v66 :: v_dual_fmac_f32 v78, 0xbf167918, v59
	v_sub_f32_e32 v89, v72, v66
	v_dual_fmac_f32 v75, 0x3f167918, v59 :: v_dual_add_f32 v80, v71, v65
	v_fmac_f32_e32 v18, -0.5, v76
	s_delay_alu instid0(VALU_DEP_4) | instskip(SKIP_1) | instid1(VALU_DEP_4)
	v_fmac_f32_e32 v78, 0x3e9e377a, v0
	v_sub_f32_e32 v92, v70, v64
	v_fmac_f32_e32 v75, 0x3e9e377a, v0
	v_fma_f32 v88, -0.5, v80, v19
	v_sub_f32_e32 v64, v65, v67
	s_waitcnt vmcnt(9)
	v_sub_f32_e32 v66, v57, v68
	s_waitcnt vmcnt(7)
	v_dual_add_f32 v72, v11, v28 :: v_dual_add_f32 v107, v54, v21
	v_fmamk_f32 v91, v89, 0x3f737871, v88
	v_add_f32_e32 v0, v73, v67
	v_dual_fmac_f32 v88, 0xbf737871, v89 :: v_dual_add_f32 v119, v52, v14
	s_delay_alu instid0(VALU_DEP_3) | instskip(NEXT) | instid1(VALU_DEP_3)
	v_fmac_f32_e32 v91, 0x3f167918, v92
	v_dual_fmamk_f32 v76, v59, 0x3f737871, v18 :: v_dual_fmac_f32 v19, -0.5, v0
	v_fmac_f32_e32 v18, 0xbf737871, v59
	v_dual_add_f32 v59, v79, v71 :: v_dual_add_f32 v74, v77, v74
	s_delay_alu instid0(VALU_DEP_3) | instskip(NEXT) | instid1(VALU_DEP_4)
	v_fmac_f32_e32 v76, 0xbf167918, v48
	v_dual_sub_f32 v0, v73, v71 :: v_dual_fmamk_f32 v93, v92, 0xbf737871, v19
	s_delay_alu instid0(VALU_DEP_4) | instskip(NEXT) | instid1(VALU_DEP_4)
	v_fmac_f32_e32 v18, 0x3f167918, v48
	v_dual_add_f32 v48, v59, v65 :: v_dual_fmac_f32 v19, 0x3f737871, v92
	v_sub_f32_e32 v59, v67, v65
	s_delay_alu instid0(VALU_DEP_4) | instskip(SKIP_1) | instid1(VALU_DEP_4)
	v_fmac_f32_e32 v93, 0x3f167918, v89
	v_sub_f32_e32 v65, v69, v63
	v_dual_add_f32 v90, v48, v67 :: v_dual_fmac_f32 v19, 0xbf167918, v89
	s_delay_alu instid0(VALU_DEP_4) | instskip(SKIP_3) | instid1(VALU_DEP_4)
	v_dual_add_f32 v94, v0, v59 :: v_dual_add_f32 v59, v57, v60
	v_fmac_f32_e32 v18, 0x3e9e377a, v74
	v_sub_f32_e32 v48, v71, v73
	v_dual_add_f32 v0, v62, v68 :: v_dual_sub_f32 v67, v55, v62
	v_add_f32_e32 v59, v68, v59
	s_waitcnt vmcnt(5)
	s_delay_alu instid0(VALU_DEP_3) | instskip(NEXT) | instid1(VALU_DEP_3)
	v_dual_sub_f32 v71, v46, v42 :: v_dual_add_f32 v48, v48, v64
	v_fma_f32 v95, -0.5, v0, v60
	s_waitcnt vmcnt(4)
	v_sub_f32_e32 v77, v26, v34
	v_dual_add_f32 v59, v62, v59 :: v_dual_add_f32 v70, v55, v57
	v_dual_fmac_f32 v19, 0x3e9e377a, v48 :: v_dual_fmac_f32 v76, 0x3e9e377a, v74
	s_delay_alu instid0(VALU_DEP_2) | instskip(NEXT) | instid1(VALU_DEP_3)
	v_dual_fmac_f32 v93, 0x3e9e377a, v48 :: v_dual_add_f32 v48, v55, v59
	v_fmac_f32_e32 v60, -0.5, v70
	v_dual_add_f32 v66, v67, v66 :: v_dual_sub_f32 v67, v68, v57
	v_sub_f32_e32 v70, v62, v55
	v_sub_f32_e32 v55, v57, v55
	s_delay_alu instid0(VALU_DEP_4) | instskip(NEXT) | instid1(VALU_DEP_3)
	v_dual_fmamk_f32 v59, v65, 0x3f737871, v60 :: v_dual_sub_f32 v0, v58, v56
	v_dual_sub_f32 v62, v68, v62 :: v_dual_add_f32 v57, v70, v67
	v_fmac_f32_e32 v60, 0xbf737871, v65
	s_delay_alu instid0(VALU_DEP_3) | instskip(SKIP_2) | instid1(VALU_DEP_2)
	v_fmamk_f32 v64, v0, 0xbf737871, v95
	v_fmac_f32_e32 v95, 0x3f737871, v0
	v_fmac_f32_e32 v91, 0x3e9e377a, v94
	;; [unrolled: 1-line block ×3, first 2 shown]
	s_delay_alu instid0(VALU_DEP_1) | instskip(SKIP_3) | instid1(VALU_DEP_3)
	v_fmac_f32_e32 v95, 0x3e9e377a, v66
	v_dual_fmac_f32 v64, 0xbf167918, v65 :: v_dual_fmac_f32 v59, 0xbf167918, v0
	v_dual_add_f32 v65, v56, v58 :: v_dual_fmac_f32 v60, 0x3f167918, v0
	v_add_f32_e32 v0, v58, v61
	v_dual_fmac_f32 v64, 0x3e9e377a, v66 :: v_dual_fmac_f32 v59, 0x3e9e377a, v57
	v_add_f32_e32 v66, v63, v69
	s_delay_alu instid0(VALU_DEP_2) | instskip(NEXT) | instid1(VALU_DEP_3)
	v_mul_f32_e32 v98, 0x3f167918, v64
	v_mul_f32_e32 v99, 0x3f737871, v59
	s_delay_alu instid0(VALU_DEP_3) | instskip(SKIP_2) | instid1(VALU_DEP_2)
	v_fma_f32 v96, -0.5, v66, v61
	v_fmac_f32_e32 v61, -0.5, v65
	v_sub_f32_e32 v65, v56, v63
	v_fmamk_f32 v67, v62, 0xbf737871, v61
	s_delay_alu instid0(VALU_DEP_1) | instskip(SKIP_3) | instid1(VALU_DEP_3)
	v_fmac_f32_e32 v67, 0x3f167918, v55
	v_fmac_f32_e32 v61, 0x3f737871, v62
	;; [unrolled: 1-line block ×3, first 2 shown]
	v_dual_add_f32 v0, v69, v0 :: v_dual_sub_f32 v57, v58, v69
	v_dual_sub_f32 v58, v69, v58 :: v_dual_fmac_f32 v61, 0xbf167918, v55
	v_sub_f32_e32 v68, v63, v56
	s_delay_alu instid0(VALU_DEP_3) | instskip(NEXT) | instid1(VALU_DEP_4)
	v_dual_fmamk_f32 v66, v55, 0x3f737871, v96 :: v_dual_add_f32 v57, v65, v57
	v_add_f32_e32 v0, v63, v0
	s_waitcnt vmcnt(3)
	v_sub_f32_e32 v69, v44, v40
	v_add_f32_e32 v58, v68, v58
	s_delay_alu instid0(VALU_DEP_3) | instskip(SKIP_1) | instid1(VALU_DEP_3)
	v_dual_fmac_f32 v66, 0x3f167918, v62 :: v_dual_add_f32 v97, v56, v0
	v_add_f32_e32 v0, v15, v22
	v_fmac_f32_e32 v61, 0x3e9e377a, v58
	v_dual_fmac_f32 v96, 0xbf737871, v55 :: v_dual_add_f32 v55, v17, v48
	v_fmac_f32_e32 v67, 0x3e9e377a, v58
	s_delay_alu instid0(VALU_DEP_3) | instskip(SKIP_1) | instid1(VALU_DEP_3)
	v_mul_f32_e32 v65, 0xbf737871, v61
	v_dual_mul_f32 v100, 0xbe9e377a, v61 :: v_dual_add_f32 v61, v38, v40
	v_mul_f32_e32 v63, 0xbf737871, v67
	v_fmac_f32_e32 v66, 0x3e9e377a, v57
	s_delay_alu instid0(VALU_DEP_4) | instskip(NEXT) | instid1(VALU_DEP_4)
	v_fmac_f32_e32 v65, 0xbe9e377a, v60
	v_fmac_f32_e32 v100, 0x3f737871, v60
	;; [unrolled: 1-line block ×5, first 2 shown]
	s_delay_alu instid0(VALU_DEP_3) | instskip(NEXT) | instid1(VALU_DEP_2)
	v_dual_sub_f32 v67, v22, v38 :: v_dual_add_f32 v110, v93, v99
	v_dual_fmac_f32 v96, 0x3e9e377a, v57 :: v_dual_add_f32 v57, v76, v63
	s_delay_alu instid0(VALU_DEP_1) | instskip(NEXT) | instid1(VALU_DEP_1)
	v_mul_f32_e32 v68, 0xbf167918, v96
	v_fmac_f32_e32 v68, 0xbf4f1bbd, v95
	s_delay_alu instid0(VALU_DEP_1) | instskip(NEXT) | instid1(VALU_DEP_1)
	v_dual_mul_f32 v62, 0xbf167918, v66 :: v_dual_add_f32 v59, v75, v68
	v_fmac_f32_e32 v62, 0x3f4f1bbd, v64
	v_sub_f32_e32 v64, v23, v45
	v_sub_f32_e32 v60, v17, v48
	v_dual_add_f32 v48, v0, v38 :: v_dual_sub_f32 v17, v18, v65
	s_delay_alu instid0(VALU_DEP_4) | instskip(SKIP_4) | instid1(VALU_DEP_3)
	v_add_f32_e32 v56, v78, v62
	v_add_f32_e32 v58, v18, v65
	v_dual_add_f32 v65, v22, v44 :: v_dual_fmac_f32 v98, 0x3f4f1bbd, v66
	v_fma_f32 v0, -0.5, v61, v15
	v_dual_sub_f32 v66, v39, v41 :: v_dual_sub_f32 v61, v78, v62
	v_dual_fmac_f32 v15, -0.5, v65 :: v_dual_add_f32 v48, v48, v40
	v_sub_f32_e32 v18, v75, v68
	v_sub_f32_e32 v75, v31, v27
	v_add_f32_e32 v109, v91, v98
	v_sub_f32_e32 v91, v91, v98
	v_dual_add_f32 v65, v48, v44 :: v_dual_add_f32 v48, v67, v69
	v_sub_f32_e32 v62, v76, v63
	v_fmamk_f32 v63, v64, 0xbf737871, v0
	v_sub_f32_e32 v69, v40, v44
	v_fmamk_f32 v67, v66, 0x3f737871, v15
	v_dual_fmac_f32 v15, 0xbf737871, v66 :: v_dual_sub_f32 v76, v30, v28
	s_delay_alu instid0(VALU_DEP_4) | instskip(SKIP_2) | instid1(VALU_DEP_4)
	v_fmac_f32_e32 v63, 0xbf167918, v66
	v_sub_f32_e32 v68, v38, v22
	v_fmac_f32_e32 v0, 0x3f737871, v64
	v_fmac_f32_e32 v15, 0x3f167918, v64
	;; [unrolled: 1-line block ×3, first 2 shown]
	s_delay_alu instid0(VALU_DEP_4)
	v_dual_add_f32 v111, v19, v100 :: v_dual_add_f32 v68, v68, v69
	s_waitcnt vmcnt(1)
	v_add_f32_e32 v70, v42, v49
	v_sub_f32_e32 v69, v54, v47
	v_sub_f32_e32 v89, v19, v100
	v_add_f32_e32 v19, v16, v23
	v_fmac_f32_e32 v15, 0x3e9e377a, v68
	v_fma_f32 v101, -0.5, v70, v20
	v_dual_sub_f32 v64, v50, v43 :: v_dual_fmac_f32 v67, 0x3e9e377a, v68
	v_dual_fmac_f32 v63, 0x3e9e377a, v48 :: v_dual_sub_f32 v70, v53, v49
	s_delay_alu instid0(VALU_DEP_3) | instskip(SKIP_3) | instid1(VALU_DEP_3)
	v_fmamk_f32 v102, v69, 0xbf737871, v101
	v_fmac_f32_e32 v101, 0x3f737871, v69
	v_fmac_f32_e32 v0, 0x3f167918, v66
	v_add_f32_e32 v66, v53, v20
	v_fmac_f32_e32 v101, 0x3f167918, v64
	s_delay_alu instid0(VALU_DEP_3) | instskip(NEXT) | instid1(VALU_DEP_3)
	v_fmac_f32_e32 v0, 0x3e9e377a, v48
	v_add_f32_e32 v48, v49, v66
	v_add_f32_e32 v66, v46, v53
	s_delay_alu instid0(VALU_DEP_1) | instskip(NEXT) | instid1(VALU_DEP_1)
	v_fmac_f32_e32 v20, -0.5, v66
	v_fmamk_f32 v103, v64, 0x3f737871, v20
	s_delay_alu instid0(VALU_DEP_1) | instskip(NEXT) | instid1(VALU_DEP_1)
	v_dual_fmac_f32 v103, 0xbf167918, v69 :: v_dual_add_f32 v48, v42, v48
	v_add_f32_e32 v68, v46, v48
	v_add_f32_e32 v48, v43, v50
	s_delay_alu instid0(VALU_DEP_1)
	v_fma_f32 v104, -0.5, v48, v21
	v_sub_f32_e32 v48, v49, v42
	v_add_f32_e32 v66, v71, v70
	v_add_f32_e32 v71, v47, v54
	v_sub_f32_e32 v70, v42, v46
	v_fmac_f32_e32 v102, 0xbf167918, v64
	s_delay_alu instid0(VALU_DEP_3) | instskip(SKIP_1) | instid1(VALU_DEP_2)
	v_dual_sub_f32 v46, v53, v46 :: v_dual_fmac_f32 v21, -0.5, v71
	v_sub_f32_e32 v71, v29, v35
	v_fmamk_f32 v105, v48, 0xbf737871, v21
	v_fmac_f32_e32 v21, 0x3f737871, v48
	v_fmac_f32_e32 v102, 0x3e9e377a, v66
	;; [unrolled: 1-line block ×4, first 2 shown]
	v_dual_fmac_f32 v105, 0x3f167918, v46 :: v_dual_sub_f32 v66, v49, v53
	v_sub_f32_e32 v53, v54, v50
	v_sub_f32_e32 v54, v50, v54
	v_fmac_f32_e32 v21, 0xbf167918, v46
	s_delay_alu instid0(VALU_DEP_4) | instskip(SKIP_2) | instid1(VALU_DEP_3)
	v_dual_fmac_f32 v20, 0x3f167918, v69 :: v_dual_add_f32 v49, v70, v66
	v_sub_f32_e32 v66, v47, v43
	v_sub_f32_e32 v70, v43, v47
	v_fmac_f32_e32 v20, 0x3e9e377a, v49
	s_delay_alu instid0(VALU_DEP_3) | instskip(NEXT) | instid1(VALU_DEP_3)
	v_add_f32_e32 v53, v66, v53
	v_dual_add_f32 v54, v70, v54 :: v_dual_fmac_f32 v103, 0x3e9e377a, v49
	v_sub_f32_e32 v66, v34, v26
	s_delay_alu instid0(VALU_DEP_2) | instskip(SKIP_1) | instid1(VALU_DEP_2)
	v_fmac_f32_e32 v21, 0x3e9e377a, v54
	v_fmac_f32_e32 v105, 0x3e9e377a, v54
	v_dual_add_f32 v54, v30, v26 :: v_dual_mul_f32 v69, 0xbf737871, v21
	s_delay_alu instid0(VALU_DEP_2) | instskip(SKIP_1) | instid1(VALU_DEP_3)
	v_mul_f32_e32 v64, 0xbf737871, v105
	v_mul_f32_e32 v21, 0xbe9e377a, v21
	v_fmac_f32_e32 v69, 0xbe9e377a, v20
	v_fmamk_f32 v42, v46, 0x3f737871, v104
	v_fmac_f32_e32 v104, 0xbf737871, v46
	v_fmac_f32_e32 v64, 0x3e9e377a, v103
	s_delay_alu instid0(VALU_DEP_3) | instskip(NEXT) | instid1(VALU_DEP_1)
	v_fmac_f32_e32 v42, 0x3f167918, v48
	v_fmac_f32_e32 v42, 0x3e9e377a, v53
	s_delay_alu instid0(VALU_DEP_1) | instskip(NEXT) | instid1(VALU_DEP_1)
	v_mul_f32_e32 v46, 0xbf167918, v42
	v_fmac_f32_e32 v46, 0x3f4f1bbd, v102
	s_delay_alu instid0(VALU_DEP_1) | instskip(SKIP_2) | instid1(VALU_DEP_1)
	v_add_f32_e32 v49, v63, v46
	v_sub_f32_e32 v63, v63, v46
	v_fma_f32 v46, -0.5, v54, v11
	v_fmamk_f32 v73, v71, 0xbf737871, v46
	v_fmac_f32_e32 v104, 0xbf167918, v48
	s_delay_alu instid0(VALU_DEP_2) | instskip(NEXT) | instid1(VALU_DEP_2)
	v_dual_add_f32 v48, v65, v68 :: v_dual_fmac_f32 v73, 0xbf167918, v75
	v_dual_fmac_f32 v104, 0x3e9e377a, v53 :: v_dual_add_f32 v53, v67, v64
	v_dual_sub_f32 v64, v67, v64 :: v_dual_add_f32 v67, v28, v34
	s_delay_alu instid0(VALU_DEP_1) | instskip(SKIP_1) | instid1(VALU_DEP_1)
	v_fmac_f32_e32 v11, -0.5, v67
	v_add_f32_e32 v67, v32, v36
	v_fma_f32 v112, -0.5, v67, v13
	s_waitcnt vmcnt(0)
	v_sub_f32_e32 v67, v52, v25
	s_delay_alu instid0(VALU_DEP_1) | instskip(SKIP_2) | instid1(VALU_DEP_3)
	v_dual_fmamk_f32 v113, v67, 0xbf737871, v112 :: v_dual_sub_f32 v54, v28, v30
	v_sub_f32_e32 v28, v28, v34
	v_sub_f32_e32 v38, v38, v40
	v_add_f32_e32 v74, v54, v66
	v_mul_u32_u24_e32 v66, 10, v1
	s_delay_alu instid0(VALU_DEP_1)
	v_lshl_add_u32 v106, v66, 2, 0
	ds_store_2addr_b64 v106, v[55:56], v[57:58] offset1:1
	ds_store_2addr_b64 v106, v[59:60], v[61:62] offset0:2 offset1:3
	v_sub_f32_e32 v55, v51, v36
	v_sub_f32_e32 v56, v24, v32
	v_add_f32_e32 v54, v15, v69
	v_dual_sub_f32 v66, v65, v68 :: v_dual_add_nc_u32 v115, 0xf00, v106
	v_fmamk_f32 v68, v75, 0x3f737871, v11
	v_fmac_f32_e32 v11, 0xbf737871, v75
	v_sub_f32_e32 v57, v36, v51
	v_add_f32_e32 v55, v56, v55
	v_sub_f32_e32 v58, v32, v24
	v_fmac_f32_e32 v46, 0x3f737871, v71
	v_dual_fmac_f32 v11, 0x3f167918, v71 :: v_dual_add_f32 v56, v33, v37
	v_add_f32_e32 v59, v25, v52
	s_delay_alu instid0(VALU_DEP_3) | instskip(SKIP_1) | instid1(VALU_DEP_4)
	v_dual_add_f32 v57, v58, v57 :: v_dual_fmac_f32 v46, 0x3f167918, v75
	v_add_f32_e32 v75, v76, v77
	v_fma_f32 v116, -0.5, v56, v14
	v_dual_sub_f32 v56, v52, v37 :: v_dual_add_nc_u32 v121, 0x1e10, v106
	v_fmac_f32_e32 v68, 0xbf167918, v71
	s_delay_alu instid0(VALU_DEP_4)
	v_dual_fmac_f32 v11, 0x3e9e377a, v75 :: v_dual_sub_f32 v58, v25, v33
	v_sub_f32_e32 v60, v36, v32
	v_fmac_f32_e32 v14, -0.5, v59
	v_sub_f32_e32 v52, v37, v52
	v_dual_mul_f32 v70, 0xbf167918, v104 :: v_dual_sub_f32 v71, v37, v33
	v_add_f32_e32 v56, v58, v56
	v_sub_f32_e32 v58, v33, v25
	v_fmac_f32_e32 v46, 0x3e9e377a, v74
	v_fmamk_f32 v120, v60, 0xbf737871, v14
	v_fmac_f32_e32 v70, 0xbf4f1bbd, v101
	s_delay_alu instid0(VALU_DEP_4)
	v_dual_fmac_f32 v73, 0x3e9e377a, v74 :: v_dual_add_f32 v58, v58, v52
	v_add_f32_e32 v52, v72, v30
	v_fmac_f32_e32 v68, 0x3e9e377a, v75
	v_dual_add_f32 v75, v24, v51 :: v_dual_add_f32 v74, v51, v13
	v_add_nc_u32_e32 v117, 0xf10, v106
	v_sub_f32_e32 v51, v51, v24
	s_delay_alu instid0(VALU_DEP_3) | instskip(NEXT) | instid1(VALU_DEP_4)
	v_dual_fmac_f32 v14, 0x3f737871, v60 :: v_dual_fmac_f32 v13, -0.5, v75
	v_add_f32_e32 v36, v36, v74
	s_delay_alu instid0(VALU_DEP_3)
	v_dual_add_f32 v65, v0, v70 :: v_dual_fmamk_f32 v118, v51, 0x3f737871, v116
	v_fmac_f32_e32 v116, 0xbf737871, v51
	v_fmac_f32_e32 v120, 0x3f167918, v51
	v_dual_fmac_f32 v14, 0xbf167918, v51 :: v_dual_add_f32 v51, v52, v26
	v_fmamk_f32 v114, v71, 0x3f737871, v13
	v_fmac_f32_e32 v13, 0xbf737871, v71
	s_load_b64 s[2:3], s[2:3], 0x0
	s_delay_alu instid0(VALU_DEP_3) | instskip(SKIP_1) | instid1(VALU_DEP_3)
	v_fmac_f32_e32 v14, 0x3e9e377a, v58
	v_add_f32_e32 v32, v32, v36
	v_dual_sub_f32 v52, v0, v70 :: v_dual_fmac_f32 v13, 0x3f167918, v67
	v_add_f32_e32 v0, v51, v34
	s_delay_alu instid0(VALU_DEP_4)
	v_mul_f32_e32 v59, 0xbf737871, v14
	ds_store_2addr_b64 v115, v[48:49], v[53:54] offset1:1
	ds_store_2addr_b64 v117, v[65:66], v[63:64] offset1:1
	v_dual_sub_f32 v26, v30, v26 :: v_dual_fmac_f32 v13, 0x3e9e377a, v57
	v_fmac_f32_e32 v88, 0xbf167918, v92
	v_dual_add_f32 v24, v24, v32 :: v_dual_sub_f32 v51, v15, v69
	v_add_f32_e32 v15, v50, v107
	s_delay_alu instid0(VALU_DEP_4) | instskip(NEXT) | instid1(VALU_DEP_4)
	v_fmac_f32_e32 v59, 0xbe9e377a, v13
	v_fmac_f32_e32 v88, 0x3e9e377a, v94
	v_sub_f32_e32 v92, v93, v99
	v_sub_f32_e32 v40, v23, v39
	;; [unrolled: 1-line block ×3, first 2 shown]
	v_dual_add_f32 v54, v11, v59 :: v_dual_fmac_f32 v21, 0x3f737871, v20
	v_sub_f32_e32 v59, v11, v59
	v_mul_f32_e32 v11, 0xbf4f1bbd, v96
	v_fmac_f32_e32 v118, 0x3f167918, v60
	v_add_f32_e32 v48, v0, v24
	v_dual_sub_f32 v94, v90, v97 :: v_dual_fmac_f32 v113, 0xbf167918, v71
	s_delay_alu instid0(VALU_DEP_4) | instskip(SKIP_4) | instid1(VALU_DEP_4)
	v_fmac_f32_e32 v11, 0x3f167918, v95
	v_fmac_f32_e32 v116, 0xbf167918, v60
	;; [unrolled: 1-line block ×3, first 2 shown]
	v_sub_f32_e32 v34, v35, v27
	v_fmac_f32_e32 v113, 0x3e9e377a, v55
	v_dual_add_f32 v93, v88, v11 :: v_dual_fmac_f32 v116, 0x3e9e377a, v56
	v_sub_f32_e32 v56, v0, v24
	v_mad_i32_i24 v0, 0xffffffdc, v1, v106
	v_add_f32_e32 v108, v90, v97
	v_sub_f32_e32 v90, v88, v11
	v_add_f32_e32 v11, v43, v15
	v_add_f32_e32 v15, v19, v39
	;; [unrolled: 1-line block ×3, first 2 shown]
	v_sub_f32_e32 v39, v39, v23
	v_dual_add_f32 v23, v23, v45 :: v_dual_fmac_f32 v120, 0x3e9e377a, v58
	s_delay_alu instid0(VALU_DEP_4) | instskip(NEXT) | instid1(VALU_DEP_4)
	v_add_f32_e32 v15, v15, v41
	v_fma_f32 v44, -0.5, v19, v16
	v_sub_f32_e32 v43, v45, v41
	s_delay_alu instid0(VALU_DEP_4) | instskip(SKIP_2) | instid1(VALU_DEP_4)
	v_dual_sub_f32 v41, v41, v45 :: v_dual_fmac_f32 v16, -0.5, v23
	v_mul_f32_e32 v36, 0xbf737871, v120
	v_dual_mul_f32 v32, 0xbf167918, v118 :: v_dual_add_f32 v45, v15, v45
	v_add_f32_e32 v15, v40, v43
	s_delay_alu instid0(VALU_DEP_4) | instskip(SKIP_3) | instid1(VALU_DEP_4)
	v_fmamk_f32 v23, v38, 0xbf737871, v16
	v_dual_add_f32 v19, v39, v41 :: v_dual_fmac_f32 v16, 0x3f737871, v38
	v_add_f32_e32 v11, v47, v11
	v_fmamk_f32 v47, v22, 0x3f737871, v44
	v_fmac_f32_e32 v23, 0x3f167918, v22
	v_fmac_f32_e32 v44, 0xbf737871, v22
	;; [unrolled: 1-line block ×3, first 2 shown]
	v_add_nc_u32_e32 v50, 0x120, v1
	v_sub_f32_e32 v30, v29, v31
	v_fmac_f32_e32 v23, 0x3e9e377a, v19
	v_fmac_f32_e32 v32, 0x3f4f1bbd, v113
	;; [unrolled: 1-line block ×4, first 2 shown]
	v_add_f32_e32 v30, v30, v34
	v_fmac_f32_e32 v16, 0x3e9e377a, v19
	v_fmac_f32_e32 v44, 0xbf167918, v38
	;; [unrolled: 1-line block ×3, first 2 shown]
	v_mul_f32_e32 v22, 0x3f737871, v103
	v_fmac_f32_e32 v47, 0x3e9e377a, v15
	v_add_nc_u32_e32 v86, 0x600, v0
	v_fmac_f32_e32 v44, 0x3e9e377a, v15
	v_fmac_f32_e32 v36, 0x3e9e377a, v114
	;; [unrolled: 1-line block ×3, first 2 shown]
	v_dual_sub_f32 v15, v16, v21 :: v_dual_mul_f32 v60, 0xbf167918, v116
	v_add_f32_e32 v20, v16, v21
	s_delay_alu instid0(VALU_DEP_4) | instskip(NEXT) | instid1(VALU_DEP_4)
	v_add_f32_e32 v53, v68, v36
	v_dual_add_f32 v19, v23, v22 :: v_dual_fmac_f32 v112, 0x3f737871, v67
	v_add_f32_e32 v49, v73, v32
	v_sub_f32_e32 v58, v68, v36
	v_dual_add_f32 v21, v12, v29 :: v_dual_add_nc_u32 v36, 0x1e00, v106
	s_delay_alu instid0(VALU_DEP_4) | instskip(SKIP_1) | instid1(VALU_DEP_3)
	v_dual_fmac_f32 v112, 0x3f167918, v71 :: v_dual_sub_f32 v23, v23, v22
	v_add_nc_u32_e32 v84, 0xc00, v0
	v_dual_add_f32 v21, v21, v31 :: v_dual_add_nc_u32 v78, 0x2400, v0
	s_delay_alu instid0(VALU_DEP_3)
	v_fmac_f32_e32 v112, 0x3e9e377a, v55
	v_mul_f32_e32 v38, 0x3f167918, v102
	v_add_nc_u32_e32 v76, 0x1c00, v0
	v_sub_f32_e32 v57, v73, v32
	v_add_f32_e32 v21, v21, v27
	v_add_nc_u32_e32 v75, 0x1600, v0
	v_fmac_f32_e32 v38, 0x3f4f1bbd, v42
	v_fmac_f32_e32 v60, 0xbf4f1bbd, v112
	v_add_nc_u16 v42, v1, 0x60
	v_dual_sub_f32 v96, v45, v11 :: v_dual_add_nc_u32 v79, 0x1e00, v0
	s_delay_alu instid0(VALU_DEP_4)
	v_sub_f32_e32 v22, v47, v38
	v_dual_add_f32 v39, v47, v38 :: v_dual_add_f32 v38, v45, v11
	v_add_f32_e32 v11, v37, v119
	v_add_f32_e32 v37, v31, v27
	v_add_f32_e32 v55, v46, v60
	v_dual_sub_f32 v60, v46, v60 :: v_dual_sub_f32 v31, v31, v29
	v_add_f32_e32 v29, v29, v35
	s_delay_alu instid0(VALU_DEP_4)
	v_fma_f32 v37, -0.5, v37, v12
	ds_store_2addr_b64 v36, v[48:49], v[53:54] offset1:1
	ds_store_2addr_b64 v121, v[55:56], v[57:58] offset1:1
	v_dual_sub_f32 v27, v27, v35 :: v_dual_add_nc_u32 v46, 0x1000, v0
	v_dual_fmac_f32 v12, -0.5, v29 :: v_dual_fmamk_f32 v29, v28, 0x3f737871, v37
	v_fmac_f32_e32 v37, 0xbf737871, v28
	v_add_nc_u32_e32 v77, 0x200, v0
	v_add_nc_u32_e32 v85, 0xa00, v0
	v_dual_add_f32 v21, v21, v35 :: v_dual_add_nc_u32 v80, 0x1800, v0
	v_add_nc_u32_e32 v83, 0x2800, v0
	v_add_nc_u32_e32 v87, 0x1200, v0
	ds_store_b64 v106, v[17:18] offset:32
	ds_store_b64 v106, v[51:52] offset:3872
	;; [unrolled: 1-line block ×3, first 2 shown]
	s_waitcnt lgkmcnt(0)
	s_barrier
	buffer_gl0_inv
	v_dual_add_f32 v11, v33, v11 :: v_dual_add_nc_u32 v82, 0x2200, v0
	ds_load_b32 v24, v81
	ds_load_b32 v32, v0 offset:11136
	ds_load_2addr_b32 v[48:49], v0 offset1:96
	ds_load_2addr_b32 v[73:74], v86 offset0:96 offset1:192
	ds_load_2addr_b32 v[65:66], v84 offset0:96 offset1:192
	;; [unrolled: 1-line block ×11, first 2 shown]
	v_and_b32_e32 v47, 0xffff, v9
	v_fmamk_f32 v33, v26, 0xbf737871, v12
	v_fmac_f32_e32 v29, 0x3f167918, v26
	v_fmac_f32_e32 v37, 0xbf167918, v26
	v_fmac_f32_e32 v12, 0x3f737871, v26
	s_delay_alu instid0(VALU_DEP_4) | instskip(NEXT) | instid1(VALU_DEP_4)
	v_dual_add_f32 v26, v31, v27 :: v_dual_fmac_f32 v33, 0x3f167918, v28
	v_fmac_f32_e32 v29, 0x3e9e377a, v30
	s_delay_alu instid0(VALU_DEP_4) | instskip(NEXT) | instid1(VALU_DEP_4)
	v_fmac_f32_e32 v37, 0x3e9e377a, v30
	v_dual_fmac_f32 v12, 0xbf167918, v28 :: v_dual_add_f32 v11, v25, v11
	v_mul_f32_e32 v30, 0x3f167918, v113
	v_and_b32_e32 v25, 0xff, v1
	v_fmac_f32_e32 v33, 0x3e9e377a, v26
	v_mul_f32_e32 v31, 0x3f737871, v114
	v_fmac_f32_e32 v12, 0x3e9e377a, v26
	v_fmac_f32_e32 v30, 0x3f4f1bbd, v118
	v_mul_f32_e32 v40, 0xbf4f1bbd, v104
	v_mul_f32_e32 v26, 0xbe9e377a, v14
	v_mul_lo_u16 v14, 0xcd, v25
	s_delay_alu instid0(VALU_DEP_4) | instskip(NEXT) | instid1(VALU_DEP_3)
	v_dual_fmac_f32 v31, 0x3e9e377a, v120 :: v_dual_add_f32 v28, v29, v30
	v_dual_sub_f32 v29, v29, v30 :: v_dual_fmac_f32 v26, 0x3f737871, v13
	v_fmac_f32_e32 v40, 0x3f167918, v101
	s_delay_alu instid0(VALU_DEP_4)
	v_lshrrev_b16 v25, 11, v14
	v_add_f32_e32 v27, v21, v11
	v_and_b32_e32 v43, 0xff, v42
	v_add_f32_e32 v13, v33, v31
	v_sub_f32_e32 v30, v33, v31
	v_mul_lo_u16 v31, v25, 10
	v_dual_sub_f32 v34, v21, v11 :: v_dual_sub_f32 v11, v12, v26
	v_dual_sub_f32 v16, v44, v40 :: v_dual_add_nc_u32 v41, 0xc0, v1
	v_mul_f32_e32 v35, 0xbf4f1bbd, v116
	v_add_f32_e32 v95, v44, v40
	v_mul_lo_u16 v40, 0xcd, v43
	v_sub_nc_u16 v31, v1, v31
	v_and_b32_e32 v44, 0xffff, v41
	v_fmac_f32_e32 v35, 0x3f167918, v112
	ds_load_2addr_b32 v[69:70], v87 offset0:96 offset1:192
	ds_load_2addr_b32 v[59:60], v82 offset0:32 offset1:128
	s_waitcnt lgkmcnt(0)
	s_barrier
	buffer_gl0_inv
	v_add_f32_e32 v14, v12, v26
	v_lshrrev_b16 v21, 11, v40
	ds_store_2addr_b64 v106, v[108:109], v[110:111] offset1:1
	ds_store_2addr_b64 v106, v[93:94], v[91:92] offset0:2 offset1:3
	v_and_b32_e32 v26, 0xff, v31
	ds_store_2addr_b64 v115, v[38:39], v[19:20] offset1:1
	ds_store_2addr_b64 v117, v[95:96], v[22:23] offset1:1
	v_mul_u32_u24_e32 v19, 0xcccd, v44
	v_and_b32_e32 v45, 0xffff, v50
	v_add_f32_e32 v33, v37, v35
	v_sub_f32_e32 v12, v37, v35
	v_mul_lo_u16 v31, v21, 10
	ds_store_2addr_b64 v36, v[27:28], v[13:14] offset1:1
	ds_store_2addr_b64 v121, v[33:34], v[29:30] offset1:1
	v_mul_u32_u24_e32 v13, 5, v26
	v_lshrrev_b32_e32 v22, 19, v19
	ds_store_b64 v106, v[89:90] offset:32
	ds_store_b64 v106, v[15:16] offset:3872
	ds_store_b64 v106, v[11:12] offset:7712
	v_mul_u32_u24_e32 v12, 0xcccd, v45
	v_sub_nc_u16 v14, v42, v31
	v_lshlrev_b32_e32 v11, 3, v13
	v_mul_lo_u16 v13, v22, 10
	s_waitcnt lgkmcnt(0)
	v_lshrrev_b32_e32 v19, 19, v12
	v_and_b32_e32 v29, 0xff, v14
	s_barrier
	v_sub_nc_u16 v12, v41, v13
	buffer_gl0_inv
	v_mul_lo_u16 v14, v19, 10
	v_mul_u32_u24_e32 v13, 5, v29
	global_load_b128 v[34:37], v11, s[8:9]
	v_and_b32_e32 v28, 0xffff, v12
	v_mul_u32_u24_e32 v12, 0xcccd, v47
	v_sub_nc_u16 v14, v50, v14
	v_lshlrev_b32_e32 v13, 3, v13
	v_mul_u32_u24_e32 v22, 0xf0, v22
	v_mul_u32_u24_e32 v15, 5, v28
	v_lshrrev_b32_e32 v20, 19, v12
	v_and_b32_e32 v27, 0xffff, v14
	global_load_b128 v[95:98], v13, s[8:9]
	v_mul_u32_u24_e32 v19, 0xf0, v19
	v_lshlrev_b32_e32 v12, 3, v15
	v_mul_lo_u16 v14, v20, 10
	v_mul_u32_u24_e32 v15, 5, v27
	v_mul_u32_u24_e32 v20, 0xf0, v20
	v_mul_lo_u16 v43, 0x89, v43
	global_load_b128 v[99:102], v12, s[8:9]
	v_sub_nc_u16 v14, v9, v14
	v_lshlrev_b32_e32 v15, 3, v15
	v_lshlrev_b32_e32 v29, 2, v29
	v_and_b32_e32 v21, 0xffff, v21
	v_lshlrev_b32_e32 v27, 2, v27
	v_and_b32_e32 v23, 0xffff, v14
	global_load_b128 v[103:106], v15, s[8:9]
	v_mul_u32_u24_e32 v21, 0xf0, v21
	v_mul_u32_u24_e32 v14, 5, v23
	v_lshlrev_b32_e32 v23, 2, v23
	s_delay_alu instid0(VALU_DEP_2)
	v_lshlrev_b32_e32 v30, 3, v14
	s_clause 0xa
	global_load_b128 v[107:110], v30, s[8:9]
	global_load_b128 v[111:114], v11, s[8:9] offset:16
	global_load_b128 v[115:118], v13, s[8:9] offset:16
	;; [unrolled: 1-line block ×5, first 2 shown]
	global_load_b64 v[131:132], v11, s[8:9] offset:32
	global_load_b64 v[133:134], v13, s[8:9] offset:32
	;; [unrolled: 1-line block ×5, first 2 shown]
	ds_load_2addr_b32 v[38:39], v86 offset0:96 offset1:192
	ds_load_2addr_b32 v[135:136], v84 offset0:96 offset1:192
	;; [unrolled: 1-line block ×4, first 2 shown]
	s_waitcnt vmcnt(14)
	v_mul_f32_e32 v31, v73, v35
	s_waitcnt lgkmcnt(3)
	v_mul_f32_e32 v88, v38, v35
	s_delay_alu instid0(VALU_DEP_2) | instskip(NEXT) | instid1(VALU_DEP_2)
	v_fma_f32 v35, v38, v34, -v31
	v_fmac_f32_e32 v88, v73, v34
	ds_load_2addr_b32 v[33:34], v87 offset0:96 offset1:192
	s_waitcnt vmcnt(13)
	v_mul_f32_e32 v93, v39, v96
	s_waitcnt lgkmcnt(2)
	v_dual_mul_f32 v31, v74, v96 :: v_dual_mul_f32 v94, v89, v98
	s_delay_alu instid0(VALU_DEP_2) | instskip(NEXT) | instid1(VALU_DEP_2)
	v_fmac_f32_e32 v93, v74, v95
	v_fma_f32 v95, v39, v95, -v31
	s_waitcnt vmcnt(12)
	v_dual_mul_f32 v73, v90, v102 :: v_dual_mul_f32 v38, v67, v100
	v_dual_mul_f32 v31, v72, v102 :: v_dual_fmac_f32 v94, v71, v97
	s_delay_alu instid0(VALU_DEP_2) | instskip(SKIP_1) | instid1(VALU_DEP_3)
	v_fmac_f32_e32 v73, v72, v101
	s_waitcnt lgkmcnt(1)
	v_fma_f32 v72, v137, v99, -v38
	s_waitcnt vmcnt(11)
	v_mul_f32_e32 v39, v68, v104
	v_mul_f32_e32 v40, v138, v104
	v_fma_f32 v31, v90, v101, -v31
	s_waitcnt vmcnt(10)
	v_mul_f32_e32 v92, v70, v110
	v_fma_f32 v74, v138, v103, -v39
	ds_load_2addr_b32 v[38:39], v79 offset0:96 offset1:192
	v_mul_f32_e32 v30, v136, v37
	v_dual_mul_f32 v37, v66, v37 :: v_dual_fmac_f32 v40, v68, v103
	v_mul_f32_e32 v68, v69, v106
	ds_load_2addr_b32 v[102:103], v78 offset0:96 offset1:192
	v_fmac_f32_e32 v30, v66, v36
	v_fma_f32 v91, v136, v36, -v37
	v_dual_mul_f32 v36, v71, v98 :: v_dual_mul_f32 v71, v137, v100
	v_mul_f32_e32 v66, v135, v108
	s_waitcnt lgkmcnt(2)
	v_fma_f32 v90, v33, v105, -v68
	v_fma_f32 v68, v34, v109, -v92
	;; [unrolled: 1-line block ×3, first 2 shown]
	ds_load_2addr_b32 v[36:37], v75 offset0:32 offset1:128
	ds_load_2addr_b32 v[96:97], v76 offset0:32 offset1:128
	v_fmac_f32_e32 v71, v67, v99
	v_mul_f32_e32 v89, v33, v106
	ds_load_2addr_b32 v[98:99], v80 offset0:96 offset1:192
	v_mul_f32_e32 v67, v34, v110
	ds_load_2addr_b32 v[100:101], v82 offset0:32 offset1:128
	v_fmac_f32_e32 v66, v65, v107
	v_fmac_f32_e32 v89, v69, v105
	s_waitcnt vmcnt(8) lgkmcnt(5)
	v_dual_mul_f32 v69, v65, v108 :: v_dual_mul_f32 v92, v38, v118
	v_fmac_f32_e32 v67, v70, v109
	s_delay_alu instid0(VALU_DEP_2) | instskip(NEXT) | instid1(VALU_DEP_3)
	v_fma_f32 v65, v135, v107, -v69
	v_dual_mul_f32 v69, v56, v114 :: v_dual_fmac_f32 v92, v61, v117
	s_waitcnt lgkmcnt(3)
	v_mul_f32_e32 v106, v37, v116
	s_waitcnt vmcnt(6) lgkmcnt(1)
	v_dual_mul_f32 v33, v97, v114 :: v_dual_mul_f32 v70, v99, v124
	s_delay_alu instid0(VALU_DEP_2) | instskip(SKIP_2) | instid1(VALU_DEP_4)
	v_fmac_f32_e32 v106, v64, v115
	v_mul_f32_e32 v34, v63, v112
	v_mul_f32_e32 v104, v36, v112
	v_dual_fmac_f32 v33, v56, v113 :: v_dual_mul_f32 v56, v61, v118
	v_fmac_f32_e32 v70, v58, v123
	s_delay_alu instid0(VALU_DEP_4)
	v_fma_f32 v105, v36, v111, -v34
	v_mul_f32_e32 v36, v64, v116
	v_fmac_f32_e32 v104, v63, v111
	v_fma_f32 v34, v97, v113, -v69
	v_mul_f32_e32 v63, v39, v122
	v_mul_f32_e32 v69, v62, v122
	v_fma_f32 v107, v37, v115, -v36
	v_mul_f32_e32 v36, v57, v120
	v_mul_f32_e32 v37, v58, v124
	v_fmac_f32_e32 v63, v62, v121
	v_fma_f32 v61, v39, v121, -v69
	v_mul_f32_e32 v62, v98, v120
	v_fma_f32 v69, v98, v119, -v36
	ds_load_2addr_b32 v[97:98], v83 offset0:32 offset1:128
	v_fma_f32 v64, v38, v117, -v56
	v_fma_f32 v58, v99, v123, -v37
	v_mul_f32_e32 v37, v59, v126
	s_waitcnt vmcnt(5) lgkmcnt(1)
	v_dual_mul_f32 v39, v55, v128 :: v_dual_mul_f32 v56, v101, v130
	v_fmac_f32_e32 v62, v57, v119
	v_mul_f32_e32 v38, v100, v126
	v_fma_f32 v57, v100, v125, -v37
	s_delay_alu instid0(VALU_DEP_4)
	v_fma_f32 v37, v96, v127, -v39
	v_fmac_f32_e32 v56, v60, v129
	s_waitcnt vmcnt(4)
	v_dual_mul_f32 v39, v60, v130 :: v_dual_mul_f32 v60, v102, v132
	v_mul_f32_e32 v36, v96, v128
	s_waitcnt vmcnt(3)
	v_dual_mul_f32 v96, v53, v132 :: v_dual_mul_f32 v99, v103, v134
	v_lshlrev_b32_e32 v28, 2, v28
	v_fmac_f32_e32 v60, v53, v131
	v_mul_f32_e32 v100, v54, v134
	v_fmac_f32_e32 v36, v55, v127
	v_fma_f32 v55, v101, v129, -v39
	v_fma_f32 v39, v102, v131, -v96
	v_fmac_f32_e32 v99, v54, v133
	v_fma_f32 v53, v103, v133, -v100
	s_waitcnt vmcnt(2)
	v_mul_f32_e32 v96, v51, v14
	v_add_f32_e32 v103, v93, v106
	s_waitcnt lgkmcnt(0)
	v_mul_f32_e32 v54, v97, v14
	s_waitcnt vmcnt(1)
	v_mul_f32_e32 v14, v98, v16
	v_mul_f32_e32 v16, v52, v16
	ds_load_b32 v100, v81
	v_add_f32_e32 v102, v49, v94
	v_fmac_f32_e32 v54, v51, v13
	v_fma_f32 v51, v97, v13, -v96
	v_dual_add_f32 v13, v107, v53 :: v_dual_fmac_f32 v14, v52, v15
	v_fma_f32 v52, v98, v15, -v16
	v_add_f32_e32 v98, v95, v107
	v_add_f32_e32 v97, v106, v99
	s_delay_alu instid0(VALU_DEP_4)
	v_fmac_f32_e32 v95, -0.5, v13
	v_sub_f32_e32 v13, v106, v99
	ds_load_2addr_b32 v[15:16], v0 offset1:96
	v_dual_add_f32 v96, v94, v92 :: v_dual_fmac_f32 v93, -0.5, v97
	v_dual_sub_f32 v97, v107, v53 :: v_dual_fmamk_f32 v106, v13, 0x3f5db3d7, v95
	v_add_f32_e32 v99, v103, v99
	v_fmac_f32_e32 v95, 0xbf5db3d7, v13
	v_fmac_f32_e32 v38, v59, v125
	ds_load_b32 v59, v0 offset:11136
	v_add_f32_e32 v107, v136, v64
	v_fmac_f32_e32 v49, -0.5, v96
	v_dual_sub_f32 v13, v136, v64 :: v_dual_fmamk_f32 v96, v97, 0xbf5db3d7, v93
	v_fmac_f32_e32 v93, 0x3f5db3d7, v97
	v_dual_mul_f32 v97, 0xbf5db3d7, v95 :: v_dual_sub_f32 v94, v94, v92
	v_add3_u32 v112, 0, v20, v23
	s_waitcnt lgkmcnt(1)
	s_delay_alu instid0(VALU_DEP_2) | instskip(SKIP_1) | instid1(VALU_DEP_1)
	v_dual_fmac_f32 v97, -0.5, v93 :: v_dual_add_f32 v108, v16, v136
	v_fmac_f32_e32 v16, -0.5, v107
	v_fmamk_f32 v107, v94, 0x3f5db3d7, v16
	s_waitcnt vmcnt(0) lgkmcnt(0)
	v_dual_fmac_f32 v16, 0xbf5db3d7, v94 :: v_dual_mul_f32 v101, v59, v12
	v_mul_f32_e32 v12, v32, v12
	s_delay_alu instid0(VALU_DEP_2) | instskip(NEXT) | instid1(VALU_DEP_2)
	v_fmac_f32_e32 v101, v32, v11
	v_fma_f32 v59, v59, v11, -v12
	v_dual_mul_f32 v11, -0.5, v95 :: v_dual_add_f32 v12, v91, v34
	v_fmamk_f32 v32, v13, 0xbf5db3d7, v49
	v_fmac_f32_e32 v49, 0x3f5db3d7, v13
	v_add_f32_e32 v13, v30, v33
	s_delay_alu instid0(VALU_DEP_4) | instskip(SKIP_3) | instid1(VALU_DEP_4)
	v_fmac_f32_e32 v11, 0x3f5db3d7, v93
	v_fma_f32 v93, -0.5, v12, v15
	v_add_f32_e32 v12, v105, v39
	v_add_f32_e32 v95, v49, v97
	v_dual_sub_f32 v49, v49, v97 :: v_dual_add_f32 v94, v16, v11
	v_dual_sub_f32 v97, v16, v11 :: v_dual_add_f32 v16, v35, v105
	s_delay_alu instid0(VALU_DEP_4)
	v_dual_fmac_f32 v35, -0.5, v12 :: v_dual_and_b32 v12, 0xffff, v25
	v_add_f32_e32 v25, v88, v104
	v_add_f32_e32 v11, v104, v60
	v_sub_f32_e32 v109, v104, v60
	v_fma_f32 v13, -0.5, v13, v48
	v_sub_f32_e32 v104, v105, v39
	v_add_f32_e32 v15, v15, v91
	s_delay_alu instid0(VALU_DEP_4) | instskip(SKIP_4) | instid1(VALU_DEP_4)
	v_dual_fmac_f32 v88, -0.5, v11 :: v_dual_fmamk_f32 v105, v109, 0x3f5db3d7, v35
	v_sub_f32_e32 v91, v91, v34
	v_fmac_f32_e32 v35, 0xbf5db3d7, v109
	v_mul_u32_u24_e32 v11, 0xf0, v12
	v_lshlrev_b32_e32 v12, 2, v26
	v_dual_fmamk_f32 v26, v104, 0xbf5db3d7, v88 :: v_dual_fmamk_f32 v109, v91, 0xbf5db3d7, v13
	v_dual_fmac_f32 v13, 0x3f5db3d7, v91 :: v_dual_fmac_f32 v88, 0x3f5db3d7, v104
	v_dual_mul_f32 v91, 0xbf5db3d7, v35 :: v_dual_add_f32 v92, v102, v92
	v_mul_f32_e32 v102, 0xbf5db3d7, v106
	v_dual_add_f32 v48, v48, v30 :: v_dual_add_f32 v25, v25, v60
	s_delay_alu instid0(VALU_DEP_3) | instskip(SKIP_1) | instid1(VALU_DEP_4)
	v_fmac_f32_e32 v91, -0.5, v88
	v_add3_u32 v60, 0, v11, v12
	v_fmac_f32_e32 v102, 0.5, v96
	s_delay_alu instid0(VALU_DEP_4)
	v_add_f32_e32 v48, v48, v33
	ds_load_2addr_b32 v[11:12], v77 offset0:64 offset1:160
	v_add_f32_e32 v103, v13, v91
	v_sub_f32_e32 v13, v13, v91
	v_add3_u32 v91, 0, v21, v29
	v_dual_add_f32 v21, v92, v99 :: v_dual_mul_f32 v110, 0xbf5db3d7, v105
	v_add_f32_e32 v104, v48, v25
	v_sub_f32_e32 v25, v48, v25
	v_add_f32_e32 v29, v32, v102
	s_waitcnt lgkmcnt(0)
	v_fmac_f32_e32 v110, 0.5, v26
	s_barrier
	buffer_gl0_inv
	v_mul_f32_e32 v113, -0.5, v35
	v_dual_add_f32 v53, v98, v53 :: v_dual_add_f32 v48, v109, v110
	v_sub_f32_e32 v109, v109, v110
	v_add_f32_e32 v110, v65, v37
	ds_store_2addr_b32 v60, v104, v48 offset1:10
	ds_store_2addr_b32 v60, v103, v25 offset0:20 offset1:30
	ds_store_2addr_b32 v60, v109, v13 offset0:40 offset1:50
	ds_store_2addr_b32 v91, v21, v29 offset1:10
	v_dual_add_f32 v13, v58, v52 :: v_dual_sub_f32 v48, v92, v99
	v_add_f32_e32 v21, v89, v38
	v_add_f32_e32 v25, v70, v14
	;; [unrolled: 1-line block ×3, first 2 shown]
	s_delay_alu instid0(VALU_DEP_4)
	v_dual_fmac_f32 v74, -0.5, v13 :: v_dual_add_f32 v99, v71, v62
	v_sub_f32_e32 v13, v70, v14
	ds_store_2addr_b32 v91, v95, v48 offset0:20 offset1:30
	v_dual_add_f32 v29, v18, v89 :: v_dual_add_f32 v48, v40, v70
	v_dual_fmac_f32 v40, -0.5, v25 :: v_dual_sub_f32 v25, v58, v52
	v_fmamk_f32 v58, v13, 0x3f5db3d7, v74
	v_fmac_f32_e32 v74, 0xbf5db3d7, v13
	v_fmac_f32_e32 v18, -0.5, v21
	s_delay_alu instid0(VALU_DEP_4) | instskip(SKIP_1) | instid1(VALU_DEP_2)
	v_dual_sub_f32 v13, v90, v57 :: v_dual_fmamk_f32 v70, v25, 0xbf5db3d7, v40
	v_dual_fmac_f32 v40, 0x3f5db3d7, v25 :: v_dual_sub_f32 v25, v32, v102
	v_dual_mul_f32 v21, 0xbf5db3d7, v74 :: v_dual_fmamk_f32 v32, v13, 0xbf5db3d7, v18
	v_dual_fmac_f32 v18, 0x3f5db3d7, v13 :: v_dual_add_f32 v13, v73, v63
	ds_store_2addr_b32 v91, v25, v49 offset0:40 offset1:50
	v_mul_f32_e32 v25, -0.5, v74
	v_dual_add_f32 v95, v90, v57 :: v_dual_add_f32 v90, v12, v90
	v_fma_f32 v13, -0.5, v13, v17
	v_add_f32_e32 v17, v17, v73
	v_sub_f32_e32 v89, v89, v38
	v_add_f32_e32 v109, v16, v39
	v_add_f32_e32 v29, v29, v38
	;; [unrolled: 1-line block ×4, first 2 shown]
	v_fmac_f32_e32 v21, -0.5, v40
	v_dual_fmac_f32 v25, 0x3f5db3d7, v40 :: v_dual_add_f32 v40, v62, v54
	s_delay_alu instid0(VALU_DEP_4) | instskip(SKIP_1) | instid1(VALU_DEP_4)
	v_fmac_f32_e32 v65, -0.5, v16
	v_add3_u32 v103, 0, v22, v28
	v_add_f32_e32 v49, v18, v21
	v_dual_sub_f32 v18, v18, v21 :: v_dual_add_f32 v21, v69, v51
	v_dual_fmac_f32 v71, -0.5, v40 :: v_dual_sub_f32 v40, v31, v61
	v_dual_fmac_f32 v12, -0.5, v95 :: v_dual_add_f32 v95, v31, v61
	v_add_f32_e32 v14, v48, v14
	v_add_f32_e32 v102, v72, v69
	v_fmac_f32_e32 v72, -0.5, v21
	s_delay_alu instid0(VALU_DEP_4) | instskip(SKIP_3) | instid1(VALU_DEP_3)
	v_fmamk_f32 v74, v89, 0x3f5db3d7, v12
	v_dual_fmac_f32 v12, 0xbf5db3d7, v89 :: v_dual_sub_f32 v21, v62, v54
	v_fma_f32 v89, -0.5, v95, v11
	v_sub_f32_e32 v16, v36, v101
	v_dual_add_f32 v104, v15, v34 :: v_dual_add_f32 v95, v12, v25
	v_dual_sub_f32 v62, v12, v25 :: v_dual_add_f32 v11, v11, v31
	v_dual_add_f32 v12, v99, v54 :: v_dual_sub_f32 v25, v69, v51
	v_fmamk_f32 v99, v40, 0xbf5db3d7, v13
	v_fmamk_f32 v54, v21, 0x3f5db3d7, v72
	v_fmac_f32_e32 v72, 0xbf5db3d7, v21
	v_fmac_f32_e32 v13, 0x3f5db3d7, v40
	v_fmamk_f32 v69, v25, 0xbf5db3d7, v71
	v_fmac_f32_e32 v71, 0x3f5db3d7, v25
	v_mul_f32_e32 v21, 0xbf5db3d7, v54
	v_dual_mul_f32 v25, 0xbf5db3d7, v72 :: v_dual_mul_f32 v40, 0xbf5db3d7, v58
	v_dual_add_f32 v22, v17, v12 :: v_dual_add_f32 v15, v24, v67
	s_delay_alu instid0(VALU_DEP_3) | instskip(NEXT) | instid1(VALU_DEP_3)
	v_fmac_f32_e32 v21, 0.5, v69
	v_dual_fmac_f32 v25, -0.5, v71 :: v_dual_fmac_f32 v40, 0.5, v70
	v_sub_f32_e32 v12, v17, v12
	s_delay_alu instid0(VALU_DEP_4) | instskip(NEXT) | instid1(VALU_DEP_4)
	v_add_f32_e32 v15, v15, v56
	v_add_f32_e32 v28, v99, v21
	s_delay_alu instid0(VALU_DEP_4)
	v_add_f32_e32 v17, v13, v25
	v_sub_f32_e32 v21, v99, v21
	v_sub_f32_e32 v13, v13, v25
	v_add3_u32 v99, 0, v19, v27
	v_add_f32_e32 v19, v29, v14
	v_add_f32_e32 v25, v32, v40
	ds_store_2addr_b32 v103, v22, v28 offset1:10
	ds_store_2addr_b32 v103, v17, v12 offset0:20 offset1:30
	ds_store_2addr_b32 v103, v21, v13 offset0:40 offset1:50
	ds_store_2addr_b32 v99, v19, v25 offset1:10
	v_dual_add_f32 v17, v36, v101 :: v_dual_add_f32 v22, v66, v36
	v_add_f32_e32 v13, v67, v56
	v_fmac_f32_e32 v113, 0x3f5db3d7, v88
	v_dual_add_f32 v64, v108, v64 :: v_dual_sub_f32 v63, v73, v63
	s_delay_alu instid0(VALU_DEP_4) | instskip(SKIP_4) | instid1(VALU_DEP_4)
	v_add_f32_e32 v22, v22, v101
	v_dual_fmac_f32 v66, -0.5, v17 :: v_dual_sub_f32 v17, v37, v59
	v_dual_mul_f32 v12, 0.5, v105 :: v_dual_sub_f32 v19, v32, v40
	v_sub_f32_e32 v105, v30, v33
	v_add_f32_e32 v73, v64, v53
	v_fmamk_f32 v101, v17, 0xbf5db3d7, v66
	v_dual_fmac_f32 v24, -0.5, v13 :: v_dual_sub_f32 v13, v68, v55
	v_fmamk_f32 v111, v16, 0x3f5db3d7, v65
	v_fmac_f32_e32 v65, 0xbf5db3d7, v16
	v_fmac_f32_e32 v12, 0x3f5db3d7, v26
	v_dual_fmamk_f32 v114, v105, 0x3f5db3d7, v93 :: v_dual_sub_f32 v53, v64, v53
	v_fmamk_f32 v21, v13, 0xbf5db3d7, v24
	v_fmac_f32_e32 v24, 0x3f5db3d7, v13
	v_fmac_f32_e32 v66, 0x3f5db3d7, v17
	v_dual_mul_f32 v13, 0xbf5db3d7, v65 :: v_dual_sub_f32 v14, v29, v14
	v_fmac_f32_e32 v93, 0xbf5db3d7, v105
	v_add_f32_e32 v105, v114, v12
	v_add_f32_e32 v17, v15, v22
	s_delay_alu instid0(VALU_DEP_4) | instskip(SKIP_1) | instid1(VALU_DEP_2)
	v_dual_fmac_f32 v13, -0.5, v66 :: v_dual_mul_f32 v16, 0xbf5db3d7, v111
	v_dual_sub_f32 v15, v15, v22 :: v_dual_add_f32 v88, v104, v109
	v_dual_add_f32 v51, v102, v51 :: v_dual_add_f32 v20, v24, v13
	v_sub_f32_e32 v13, v24, v13
	s_delay_alu instid0(VALU_DEP_4) | instskip(SKIP_2) | instid1(VALU_DEP_3)
	v_fmac_f32_e32 v16, 0.5, v101
	v_dual_mul_f32 v54, 0.5, v54 :: v_dual_add_f32 v11, v11, v61
	v_dual_mul_f32 v61, -0.5, v72 :: v_dual_sub_f32 v104, v104, v109
	v_add_f32_e32 v22, v21, v16
	v_sub_f32_e32 v16, v21, v16
	ds_store_2addr_b32 v99, v49, v14 offset0:20 offset1:30
	ds_store_2addr_b32 v99, v19, v18 offset0:40 offset1:50
	ds_store_2addr_b32 v112, v17, v22 offset1:10
	ds_store_2addr_b32 v112, v20, v15 offset0:20 offset1:30
	ds_store_2addr_b32 v112, v16, v13 offset0:40 offset1:50
	s_waitcnt lgkmcnt(0)
	s_barrier
	buffer_gl0_inv
	ds_load_2addr_b32 v[15:16], v0 offset1:96
	ds_load_2addr_b32 v[33:34], v86 offset0:96 offset1:192
	ds_load_2addr_b32 v[31:32], v84 offset0:96 offset1:192
	;; [unrolled: 1-line block ×3, first 2 shown]
	ds_load_b32 v48, v81
	ds_load_b32 v49, v0 offset:11136
	ds_load_2addr_b32 v[21:22], v76 offset0:32 offset1:128
	ds_load_2addr_b32 v[19:20], v78 offset0:96 offset1:192
	;; [unrolled: 1-line block ×10, first 2 shown]
	s_waitcnt lgkmcnt(0)
	s_barrier
	buffer_gl0_inv
	ds_store_2addr_b32 v60, v88, v105 offset1:10
	v_mul_f32_e32 v88, 0.5, v106
	v_fmamk_f32 v72, v63, 0x3f5db3d7, v89
	v_fmac_f32_e32 v54, 0x3f5db3d7, v69
	v_fmac_f32_e32 v89, 0xbf5db3d7, v63
	s_delay_alu instid0(VALU_DEP_4) | instskip(SKIP_3) | instid1(VALU_DEP_4)
	v_dual_add_f32 v63, v11, v51 :: v_dual_fmac_f32 v88, 0x3f5db3d7, v96
	v_fmac_f32_e32 v61, 0x3f5db3d7, v71
	v_sub_f32_e32 v69, v11, v51
	v_mul_f32_e32 v11, 0.5, v58
	v_dual_add_f32 v51, v68, v55 :: v_dual_add_f32 v64, v107, v88
	v_dual_add_f32 v71, v72, v54 :: v_dual_sub_f32 v88, v107, v88
	v_sub_f32_e32 v54, v72, v54
	s_delay_alu instid0(VALU_DEP_4)
	v_dual_add_f32 v72, v89, v61 :: v_dual_fmac_f32 v11, 0x3f5db3d7, v70
	v_dual_sub_f32 v58, v89, v61 :: v_dual_add_f32 v61, v100, v68
	v_dual_add_f32 v57, v90, v57 :: v_dual_add_f32 v52, v92, v52
	v_dual_add_f32 v109, v93, v113 :: v_dual_sub_f32 v12, v114, v12
	v_dual_sub_f32 v93, v93, v113 :: v_dual_fmac_f32 v100, -0.5, v51
	v_sub_f32_e32 v51, v67, v56
	s_delay_alu instid0(VALU_DEP_4)
	v_dual_add_f32 v56, v57, v52 :: v_dual_add_f32 v67, v74, v11
	v_dual_sub_f32 v57, v57, v52 :: v_dual_sub_f32 v68, v74, v11
	v_mul_f32_e32 v52, 0.5, v111
	v_add_f32_e32 v11, v61, v55
	v_mul_f32_e32 v55, -0.5, v65
	ds_store_2addr_b32 v60, v109, v104 offset0:20 offset1:30
	ds_store_2addr_b32 v60, v12, v93 offset0:40 offset1:50
	ds_store_2addr_b32 v91, v73, v64 offset1:10
	ds_store_2addr_b32 v91, v94, v53 offset0:20 offset1:30
	v_fmac_f32_e32 v52, 0x3f5db3d7, v101
	v_dual_mov_b32 v12, 0 :: v_dual_fmac_f32 v55, 0x3f5db3d7, v66
	v_fmamk_f32 v61, v51, 0x3f5db3d7, v100
	v_fmac_f32_e32 v100, 0xbf5db3d7, v51
	ds_store_2addr_b32 v91, v88, v97 offset0:40 offset1:50
	ds_store_2addr_b32 v103, v63, v71 offset1:10
	ds_store_2addr_b32 v103, v72, v69 offset0:20 offset1:30
	ds_store_2addr_b32 v103, v54, v58 offset0:40 offset1:50
	ds_store_2addr_b32 v99, v56, v67 offset1:10
	ds_store_2addr_b32 v99, v95, v57 offset0:20 offset1:30
	v_add_f32_e32 v70, v100, v55
	v_dual_add_f32 v59, v110, v59 :: v_dual_add_f32 v66, v61, v52
	v_sub_f32_e32 v61, v61, v52
	v_lshrrev_b16 v52, 13, v43
	v_mul_u32_u24_e32 v43, 0x8889, v44
	s_delay_alu instid0(VALU_DEP_4)
	v_add_f32_e32 v65, v11, v59
	v_sub_f32_e32 v59, v11, v59
	v_subrev_nc_u32_e32 v11, 60, v1
	ds_store_2addr_b32 v99, v68, v62 offset0:40 offset1:50
	ds_store_2addr_b32 v112, v65, v66 offset1:10
	ds_store_2addr_b32 v112, v70, v59 offset0:20 offset1:30
	v_cndmask_b32_e64 v51, v11, v1, s0
	s_delay_alu instid0(VALU_DEP_1) | instskip(NEXT) | instid1(VALU_DEP_1)
	v_mul_i32_i24_e32 v11, 5, v51
	v_lshlrev_b64 v[53:54], 3, v[11:12]
	v_mul_lo_u16 v11, v52, 60
	s_delay_alu instid0(VALU_DEP_1) | instskip(SKIP_3) | instid1(VALU_DEP_1)
	v_sub_nc_u16 v42, v42, v11
	v_lshrrev_b32_e32 v11, 21, v43
	v_mul_u32_u24_e32 v43, 0x8889, v45
	v_add_co_u32 v64, s0, s8, v53
	v_add_co_ci_u32_e64 v65, s0, s9, v54, s0
	v_and_b32_e32 v54, 0xff, v42
	v_mul_lo_u16 v42, v11, 60
	v_lshrrev_b32_e32 v43, 21, v43
	v_mul_u32_u24_e32 v45, 0x8889, v47
	v_cmp_lt_u32_e64 s0, 59, v1
	v_mul_u32_u24_e32 v44, 5, v54
	v_sub_nc_u16 v41, v41, v42
	v_mul_lo_u16 v42, v43, 60
	v_mul_u32_u24_e32 v11, 0x5a0, v11
	v_lshlrev_b32_e32 v54, 2, v54
	s_delay_alu instid0(VALU_DEP_4) | instskip(SKIP_3) | instid1(VALU_DEP_4)
	v_and_b32_e32 v53, 0xffff, v41
	v_lshlrev_b32_e32 v41, 3, v44
	v_sub_nc_u16 v42, v50, v42
	v_lshrrev_b32_e32 v44, 21, v45
	v_mul_u32_u24_e32 v45, 5, v53
	s_delay_alu instid0(VALU_DEP_3) | instskip(NEXT) | instid1(VALU_DEP_3)
	v_and_b32_e32 v47, 0xffff, v42
	v_mul_lo_u16 v42, v44, 60
	s_delay_alu instid0(VALU_DEP_3) | instskip(NEXT) | instid1(VALU_DEP_3)
	v_lshlrev_b32_e32 v59, 3, v45
	v_mul_u32_u24_e32 v66, 5, v47
	s_delay_alu instid0(VALU_DEP_3) | instskip(SKIP_1) | instid1(VALU_DEP_2)
	v_sub_nc_u16 v42, v9, v42
	v_lshlrev_b64 v[9:10], 3, v[9:10]
	v_and_b32_e32 v45, 0xffff, v42
	s_delay_alu instid0(VALU_DEP_4) | instskip(NEXT) | instid1(VALU_DEP_2)
	v_lshlrev_b32_e32 v42, 3, v66
	v_mul_u32_u24_e32 v66, 5, v45
	s_delay_alu instid0(VALU_DEP_1)
	v_dual_sub_f32 v55, v100, v55 :: v_dual_lshlrev_b32 v66, 3, v66
	ds_store_2addr_b32 v112, v61, v55 offset0:40 offset1:50
	s_waitcnt lgkmcnt(0)
	s_barrier
	buffer_gl0_inv
	s_clause 0xe
	global_load_b128 v[55:58], v[64:65], off offset:400
	global_load_b128 v[89:92], v59, s[8:9] offset:400
	global_load_b128 v[60:63], v41, s[8:9] offset:400
	;; [unrolled: 1-line block ×4, first 2 shown]
	global_load_b128 v[101:104], v[64:65], off offset:416
	global_load_b128 v[105:108], v41, s[8:9] offset:416
	global_load_b128 v[109:112], v59, s[8:9] offset:416
	;; [unrolled: 1-line block ×4, first 2 shown]
	global_load_b64 v[121:122], v[64:65], off offset:432
	global_load_b64 v[123:124], v41, s[8:9] offset:432
	global_load_b64 v[125:126], v59, s[8:9] offset:432
	global_load_b64 v[127:128], v42, s[8:9] offset:432
	global_load_b64 v[41:42], v66, s[8:9] offset:432
	ds_load_2addr_b32 v[65:66], v86 offset0:96 offset1:192
	ds_load_2addr_b32 v[67:68], v84 offset0:96 offset1:192
	;; [unrolled: 1-line block ×4, first 2 shown]
	s_waitcnt vmcnt(14) lgkmcnt(3)
	v_mul_f32_e32 v72, v65, v56
	v_mul_f32_e32 v56, v33, v56
	s_waitcnt lgkmcnt(2)
	v_mul_f32_e32 v46, v68, v58
	v_mul_f32_e32 v58, v32, v58
	s_waitcnt vmcnt(13) lgkmcnt(0)
	v_mul_f32_e32 v59, v129, v90
	v_fmac_f32_e32 v72, v33, v55
	v_fma_f32 v88, v65, v55, -v56
	s_waitcnt vmcnt(12)
	v_mul_f32_e32 v65, v66, v61
	v_fmac_f32_e32 v46, v32, v57
	v_fma_f32 v32, v68, v57, -v58
	v_mul_f32_e32 v68, v70, v63
	v_mul_f32_e32 v33, v34, v61
	v_dual_fmac_f32 v65, v34, v60 :: v_dual_mul_f32 v34, v39, v63
	v_mul_f32_e32 v61, v71, v92
	s_delay_alu instid0(VALU_DEP_4) | instskip(NEXT) | instid1(VALU_DEP_4)
	v_fmac_f32_e32 v68, v39, v62
	v_fma_f32 v69, v66, v60, -v33
	s_waitcnt vmcnt(11)
	v_dual_mul_f32 v33, v40, v92 :: v_dual_mul_f32 v66, v130, v94
	ds_load_2addr_b32 v[55:56], v87 offset0:96 offset1:192
	v_fma_f32 v74, v70, v62, -v34
	v_fmac_f32_e32 v61, v40, v91
	v_fma_f32 v64, v71, v91, -v33
	v_fmac_f32_e32 v66, v38, v93
	ds_load_2addr_b32 v[33:34], v75 offset0:32 offset1:128
	ds_load_2addr_b32 v[39:40], v76 offset0:32 offset1:128
	v_dual_mul_f32 v57, v37, v90 :: v_dual_mul_f32 v58, v35, v96
	s_waitcnt vmcnt(10)
	v_mul_f32_e32 v63, v31, v98
	s_waitcnt lgkmcnt(2)
	v_mul_f32_e32 v71, v55, v96
	v_dual_mul_f32 v60, v56, v100 :: v_dual_fmac_f32 v59, v37, v89
	v_fma_f32 v62, v129, v89, -v57
	v_mul_f32_e32 v57, v67, v98
	s_waitcnt vmcnt(8) lgkmcnt(1)
	v_mul_f32_e32 v92, v34, v106
	v_mul_f32_e32 v37, v38, v94
	v_fmac_f32_e32 v71, v35, v95
	v_mul_f32_e32 v35, v36, v100
	v_fma_f32 v87, v55, v95, -v58
	v_fmac_f32_e32 v92, v28, v105
	v_fma_f32 v70, v130, v93, -v37
	ds_load_2addr_b32 v[37:38], v79 offset0:96 offset1:192
	v_fmac_f32_e32 v57, v31, v97
	v_fma_f32 v58, v67, v97, -v63
	v_fmac_f32_e32 v60, v36, v99
	ds_load_2addr_b32 v[94:95], v80 offset0:96 offset1:192
	s_waitcnt lgkmcnt(2)
	v_dual_mul_f32 v36, v27, v102 :: v_dual_mul_f32 v31, v40, v104
	v_fma_f32 v63, v56, v99, -v35
	ds_load_2addr_b32 v[55:56], v82 offset0:32 offset1:128
	v_mul_f32_e32 v67, v33, v102
	v_mul_f32_e32 v35, v22, v104
	ds_load_2addr_b32 v[96:97], v78 offset0:96 offset1:192
	v_dual_fmac_f32 v31, v22, v103 :: v_dual_mul_f32 v22, v28, v106
	v_fmac_f32_e32 v67, v27, v101
	v_fma_f32 v27, v40, v103, -v35
	v_fma_f32 v73, v33, v101, -v36
	v_mul_f32_e32 v33, v29, v108
	v_fma_f32 v40, v34, v105, -v22
	s_waitcnt vmcnt(7)
	v_mul_f32_e32 v22, v30, v112
	s_waitcnt lgkmcnt(3)
	v_dual_mul_f32 v89, v38, v112 :: v_dual_mul_f32 v28, v25, v110
	v_fma_f32 v91, v37, v107, -v33
	ds_load_b32 v98, v81
	v_fma_f32 v90, v38, v111, -v22
	s_waitcnt vmcnt(6)
	v_mul_f32_e32 v22, v26, v114
	s_waitcnt lgkmcnt(3)
	s_delay_alu instid0(VALU_DEP_1)
	v_fma_f32 v36, v95, v113, -v22
	s_waitcnt vmcnt(5) lgkmcnt(2)
	v_mul_f32_e32 v22, v56, v120
	v_mul_f32_e32 v93, v37, v108
	ds_load_2addr_b32 v[37:38], v83 offset0:32 offset1:128
	v_fmac_f32_e32 v22, v24, v119
	v_fmac_f32_e32 v93, v29, v107
	v_mul_f32_e32 v35, v95, v114
	v_mul_f32_e32 v29, v21, v118
	s_waitcnt vmcnt(1) lgkmcnt(0)
	v_dual_mul_f32 v95, v18, v128 :: v_dual_mul_f32 v34, v37, v126
	v_mul_f32_e32 v33, v94, v110
	v_fmac_f32_e32 v89, v30, v111
	v_fma_f32 v30, v94, v109, -v28
	v_mul_f32_e32 v94, v97, v124
	v_mul_f32_e32 v28, v23, v116
	s_delay_alu instid0(VALU_DEP_3) | instskip(NEXT) | instid1(VALU_DEP_3)
	v_dual_fmac_f32 v34, v17, v125 :: v_dual_add_f32 v111, v62, v30
	v_dual_fmac_f32 v94, v20, v123 :: v_dual_fmac_f32 v33, v25, v109
	v_mul_f32_e32 v25, v55, v116
	v_dual_fmac_f32 v35, v26, v113 :: v_dual_mul_f32 v26, v39, v118
	v_sub_f32_e32 v116, v46, v31
	s_delay_alu instid0(VALU_DEP_3)
	v_fmac_f32_e32 v25, v23, v115
	v_fma_f32 v23, v55, v115, -v28
	v_fma_f32 v28, v39, v117, -v29
	v_dual_mul_f32 v39, v96, v122 :: v_dual_fmac_f32 v26, v21, v117
	v_mul_f32_e32 v21, v24, v120
	v_mul_f32_e32 v29, v19, v122
	ds_load_b32 v55, v0 offset:11136
	v_fmac_f32_e32 v39, v19, v121
	v_mul_f32_e32 v19, v20, v124
	v_fma_f32 v21, v56, v119, -v21
	v_fma_f32 v24, v96, v121, -v29
	v_dual_mul_f32 v56, v17, v126 :: v_dual_mul_f32 v29, v38, v128
	s_delay_alu instid0(VALU_DEP_4) | instskip(SKIP_2) | instid1(VALU_DEP_4)
	v_fma_f32 v20, v97, v123, -v19
	v_add_f32_e32 v99, v69, v40
	v_fma_f32 v17, v38, v127, -v95
	v_fma_f32 v19, v37, v125, -v56
	s_delay_alu instid0(VALU_DEP_4)
	v_dual_fmac_f32 v29, v18, v127 :: v_dual_add_f32 v18, v40, v20
	v_add_f32_e32 v56, v92, v94
	v_sub_f32_e32 v40, v40, v20
	v_add_f32_e32 v38, v68, v93
	v_add_f32_e32 v95, v16, v68
	v_fmac_f32_e32 v69, -0.5, v18
	v_sub_f32_e32 v18, v92, v94
	v_add_f32_e32 v92, v65, v92
	v_fmac_f32_e32 v65, -0.5, v56
	s_waitcnt vmcnt(0) lgkmcnt(0)
	v_mul_f32_e32 v37, v55, v42
	v_fmac_f32_e32 v16, -0.5, v38
	v_add_f32_e32 v56, v72, v67
	v_fmamk_f32 v100, v18, 0x3f5db3d7, v69
	v_fmamk_f32 v101, v40, 0xbf5db3d7, v65
	v_dual_fmac_f32 v65, 0x3f5db3d7, v40 :: v_dual_mul_f32 v40, v49, v42
	v_add_f32_e32 v92, v92, v94
	ds_load_2addr_b32 v[96:97], v77 offset0:64 offset1:160
	v_add_f32_e32 v108, v70, v36
	v_add_f32_e32 v123, v74, v91
	v_fma_f32 v102, v55, v41, -v40
	v_dual_add_f32 v40, v67, v39 :: v_dual_fmac_f32 v69, 0xbf5db3d7, v18
	v_sub_f32_e32 v18, v74, v91
	v_add_f32_e32 v20, v99, v20
	s_delay_alu instid0(VALU_DEP_3) | instskip(SKIP_1) | instid1(VALU_DEP_4)
	v_fmac_f32_e32 v72, -0.5, v40
	v_sub_f32_e32 v40, v73, v24
	v_fmamk_f32 v42, v18, 0xbf5db3d7, v16
	v_fmac_f32_e32 v16, 0x3f5db3d7, v18
	v_dual_add_f32 v18, v46, v31 :: v_dual_fmac_f32 v37, v49, v41
	v_add_f32_e32 v49, v73, v24
	v_add_f32_e32 v41, v88, v73
	v_fmamk_f32 v103, v40, 0xbf5db3d7, v72
	v_fmac_f32_e32 v72, 0x3f5db3d7, v40
	v_mul_f32_e32 v38, 0xbf5db3d7, v69
	v_dual_fmac_f32 v88, -0.5, v49 :: v_dual_sub_f32 v49, v67, v39
	v_fma_f32 v18, -0.5, v18, v15
	v_cndmask_b32_e64 v73, 0, 0x5a0, s0
	v_add_f32_e32 v39, v56, v39
	v_mul_f32_e32 v69, -0.5, v69
	v_fmamk_f32 v67, v49, 0x3f5db3d7, v88
	v_fmac_f32_e32 v88, 0xbf5db3d7, v49
	s_delay_alu instid0(VALU_DEP_2) | instskip(SKIP_3) | instid1(VALU_DEP_4)
	v_mul_f32_e32 v104, 0xbf5db3d7, v67
	v_dual_sub_f32 v49, v32, v27 :: v_dual_add_f32 v94, v95, v93
	v_add_f32_e32 v15, v15, v46
	v_lshlrev_b32_e32 v51, 2, v51
	v_fmac_f32_e32 v104, 0.5, v103
	v_fmac_f32_e32 v38, -0.5, v65
	v_mul_f32_e32 v40, 0xbf5db3d7, v88
	v_fmamk_f32 v56, v49, 0xbf5db3d7, v18
	v_fmac_f32_e32 v18, 0x3f5db3d7, v49
	v_add3_u32 v105, 0, v73, v51
	v_add_f32_e32 v55, v16, v38
	v_dual_add_f32 v51, v15, v31 :: v_dual_fmac_f32 v40, -0.5, v72
	s_delay_alu instid0(VALU_DEP_3) | instskip(SKIP_1) | instid1(VALU_DEP_3)
	v_dual_add_f32 v73, v56, v104 :: v_dual_add_nc_u32 v106, 0x200, v105
	v_sub_f32_e32 v56, v56, v104
	v_dual_mul_f32 v104, 0xbf5db3d7, v100 :: v_dual_add_f32 v49, v51, v39
	v_sub_f32_e32 v39, v51, v39
	v_and_b32_e32 v51, 0xffff, v52
	v_add_f32_e32 v52, v18, v40
	s_delay_alu instid0(VALU_DEP_4)
	v_fmac_f32_e32 v104, 0.5, v101
	v_sub_f32_e32 v18, v18, v40
	v_add_f32_e32 v40, v94, v92
	v_mul_u32_u24_e32 v51, 0x5a0, v51
	v_sub_f32_e32 v38, v16, v38
	ds_load_2addr_b32 v[15:16], v0 offset1:96
	s_waitcnt lgkmcnt(0)
	s_barrier
	v_add3_u32 v107, 0, v51, v54
	v_add_f32_e32 v51, v42, v104
	v_sub_f32_e32 v54, v94, v92
	buffer_gl0_inv
	ds_store_2addr_b32 v105, v49, v73 offset1:60
	ds_store_2addr_b32 v105, v52, v39 offset0:120 offset1:180
	ds_store_2addr_b32 v106, v56, v18 offset0:112 offset1:172
	ds_store_2addr_b32 v107, v40, v51 offset1:60
	ds_store_2addr_b32 v107, v55, v54 offset0:120 offset1:180
	v_add_f32_e32 v39, v36, v17
	v_dual_add_f32 v40, v71, v25 :: v_dual_add_f32 v49, v14, v71
	v_dual_sub_f32 v36, v36, v17 :: v_dual_mul_f32 v117, 0.5, v67
	s_delay_alu instid0(VALU_DEP_3) | instskip(SKIP_3) | instid1(VALU_DEP_4)
	v_dual_fmac_f32 v70, -0.5, v39 :: v_dual_sub_f32 v39, v35, v29
	v_sub_f32_e32 v18, v42, v104
	v_add_nc_u32_e32 v104, 0x200, v107
	v_dual_add_f32 v42, v35, v29 :: v_dual_add_f32 v35, v66, v35
	v_fmamk_f32 v109, v39, 0x3f5db3d7, v70
	v_fmac_f32_e32 v70, 0xbf5db3d7, v39
	ds_store_2addr_b32 v104, v18, v38 offset0:112 offset1:172
	v_add_f32_e32 v38, v30, v19
	v_fmac_f32_e32 v66, -0.5, v42
	v_dual_fmac_f32 v14, -0.5, v40 :: v_dual_sub_f32 v39, v87, v23
	v_dual_add_f32 v40, v33, v34 :: v_dual_add_f32 v29, v35, v29
	s_delay_alu instid0(VALU_DEP_4)
	v_fmac_f32_e32 v62, -0.5, v38
	v_sub_f32_e32 v38, v33, v34
	v_fmamk_f32 v110, v36, 0xbf5db3d7, v66
	v_fmamk_f32 v18, v39, 0xbf5db3d7, v14
	v_add_f32_e32 v33, v59, v33
	v_dual_fmac_f32 v59, -0.5, v40 :: v_dual_sub_f32 v30, v30, v19
	v_dual_fmac_f32 v14, 0x3f5db3d7, v39 :: v_dual_add_f32 v39, v61, v89
	v_fmamk_f32 v112, v38, 0x3f5db3d7, v62
	v_fmac_f32_e32 v62, 0xbf5db3d7, v38
	v_dual_fmac_f32 v66, 0x3f5db3d7, v36 :: v_dual_add_f32 v33, v33, v34
	v_dual_mul_f32 v36, 0xbf5db3d7, v70 :: v_dual_fmamk_f32 v113, v30, 0xbf5db3d7, v59
	v_fma_f32 v39, -0.5, v39, v13
	v_dual_add_f32 v13, v13, v61 :: v_dual_sub_f32 v40, v64, v90
	v_fmac_f32_e32 v59, 0x3f5db3d7, v30
	v_dual_mul_f32 v30, 0xbf5db3d7, v62 :: v_dual_add_f32 v31, v26, v37
	s_delay_alu instid0(VALU_DEP_3) | instskip(SKIP_1) | instid1(VALU_DEP_3)
	v_dual_add_f32 v13, v13, v89 :: v_dual_fmamk_f32 v38, v40, 0xbf5db3d7, v39
	v_dual_fmac_f32 v39, 0x3f5db3d7, v40 :: v_dual_lshlrev_b32 v42, 2, v53
	v_fmac_f32_e32 v30, -0.5, v59
	v_fmac_f32_e32 v36, -0.5, v66
	v_mul_u32_u24_e32 v35, 0x5a0, v43
	s_delay_alu instid0(VALU_DEP_4)
	v_add3_u32 v11, 0, v11, v42
	v_dual_add_f32 v42, v13, v33 :: v_dual_fmac_f32 v117, 0x3f5db3d7, v103
	v_sub_f32_e32 v13, v13, v33
	v_add_f32_e32 v33, v39, v30
	v_sub_f32_e32 v30, v39, v30
	v_add_f32_e32 v39, v15, v32
	v_mul_f32_e32 v34, 0xbf5db3d7, v112
	v_add_f32_e32 v40, v14, v36
	v_sub_f32_e32 v14, v14, v36
	v_dual_mul_f32 v36, 0xbf5db3d7, v109 :: v_dual_add_f32 v103, v58, v28
	s_delay_alu instid0(VALU_DEP_4) | instskip(SKIP_2) | instid1(VALU_DEP_4)
	v_fmac_f32_e32 v34, 0.5, v113
	v_mul_f32_e32 v88, -0.5, v88
	v_add_nc_u32_e32 v114, 0x200, v11
	v_dual_fmac_f32 v36, 0.5, v110 :: v_dual_fmac_f32 v69, 0x3f5db3d7, v65
	s_delay_alu instid0(VALU_DEP_4)
	v_add_f32_e32 v51, v38, v34
	v_sub_f32_e32 v34, v38, v34
	v_lshlrev_b32_e32 v38, 2, v47
	v_dual_fmac_f32 v88, 0x3f5db3d7, v72 :: v_dual_mul_f32 v65, -0.5, v70
	ds_store_2addr_b32 v11, v42, v51 offset1:60
	v_add_f32_e32 v42, v49, v25
	v_add3_u32 v115, 0, v35, v38
	v_add_f32_e32 v38, v18, v36
	v_dual_add_f32 v24, v41, v24 :: v_dual_sub_f32 v25, v71, v25
	s_delay_alu instid0(VALU_DEP_4)
	v_add_f32_e32 v35, v42, v29
	v_sub_f32_e32 v29, v42, v29
	ds_store_2addr_b32 v11, v33, v13 offset0:120 offset1:180
	ds_store_2addr_b32 v114, v34, v30 offset0:112 offset1:172
	ds_store_2addr_b32 v115, v35, v38 offset1:60
	ds_store_2addr_b32 v115, v40, v29 offset0:120 offset1:180
	v_add_f32_e32 v13, v39, v27
	v_add_f32_e32 v27, v32, v27
	;; [unrolled: 1-line block ×3, first 2 shown]
	v_dual_add_f32 v30, v48, v60 :: v_dual_add_f32 v33, v57, v26
	v_dual_sub_f32 v26, v26, v37 :: v_dual_add_f32 v29, v60, v22
	s_delay_alu instid0(VALU_DEP_3) | instskip(SKIP_1) | instid1(VALU_DEP_3)
	v_dual_fmac_f32 v58, -0.5, v32 :: v_dual_fmac_f32 v57, -0.5, v31
	v_sub_f32_e32 v28, v28, v102
	v_dual_fmac_f32 v65, 0x3f5db3d7, v66 :: v_dual_fmac_f32 v48, -0.5, v29
	s_delay_alu instid0(VALU_DEP_3) | instskip(NEXT) | instid1(VALU_DEP_3)
	v_fmamk_f32 v119, v26, 0x3f5db3d7, v58
	v_dual_sub_f32 v29, v63, v21 :: v_dual_fmamk_f32 v118, v28, 0xbf5db3d7, v57
	v_fmac_f32_e32 v58, 0xbf5db3d7, v26
	v_dual_fmac_f32 v57, 0x3f5db3d7, v28 :: v_dual_add_f32 v26, v30, v22
	s_delay_alu instid0(VALU_DEP_4)
	v_mul_f32_e32 v28, 0xbf5db3d7, v119
	v_lshlrev_b32_e32 v30, 2, v45
	v_add_f32_e32 v72, v13, v24
	v_sub_f32_e32 v13, v13, v24
	v_fmamk_f32 v31, v29, 0xbf5db3d7, v48
	v_fmac_f32_e32 v48, 0x3f5db3d7, v29
	v_dual_add_f32 v29, v33, v37 :: v_dual_fmac_f32 v28, 0.5, v118
	v_add_nc_u32_e32 v120, 0x200, v115
	v_fma_f32 v15, -0.5, v27, v15
	v_lshl_add_u32 v53, v7, 2, 0
	s_delay_alu instid0(VALU_DEP_4)
	v_add_f32_e32 v32, v26, v29
	v_dual_sub_f32 v26, v26, v29 :: v_dual_add_f32 v29, v31, v28
	v_sub_f32_e32 v18, v18, v36
	v_dual_sub_f32 v28, v31, v28 :: v_dual_sub_f32 v61, v61, v89
	v_dual_mul_f32 v71, 0.5, v112 :: v_dual_mul_f32 v62, -0.5, v62
	ds_store_2addr_b32 v120, v18, v14 offset0:112 offset1:172
	v_mul_f32_e32 v14, 0xbf5db3d7, v58
	v_mul_u32_u24_e32 v18, 0x5a0, v44
	v_lshl_add_u32 v54, v8, 2, 0
	v_add_f32_e32 v19, v111, v19
	v_fmac_f32_e32 v71, 0x3f5db3d7, v113
	v_fmac_f32_e32 v14, -0.5, v57
	v_add3_u32 v18, 0, v18, v30
	v_add_f32_e32 v17, v108, v17
	s_delay_alu instid0(VALU_DEP_3) | instskip(SKIP_1) | instid1(VALU_DEP_4)
	v_add_f32_e32 v30, v48, v14
	v_sub_f32_e32 v31, v48, v14
	v_add_nc_u32_e32 v121, 0x200, v18
	v_lshl_add_u32 v14, v1, 2, 0
	ds_store_2addr_b32 v18, v32, v29 offset1:60
	ds_store_2addr_b32 v18, v30, v26 offset0:120 offset1:180
	ds_store_2addr_b32 v121, v28, v31 offset0:112 offset1:172
	s_waitcnt lgkmcnt(0)
	s_barrier
	buffer_gl0_inv
	v_add_nc_u32_e32 v52, 0x800, v14
	v_add_nc_u32_e32 v55, 0x80, v14
	ds_load_b32 v92, v0 offset:1920
	ds_load_b32 v67, v0 offset:3840
	ds_load_b32 v51, v54
	ds_load_b32 v73, v53
	;; [unrolled: 1-line block ×3, first 2 shown]
	ds_load_b32 v95, v0 offset:11136
	ds_load_2addr_b32 v[34:35], v0 offset1:96
	ds_load_2addr_b32 v[48:49], v75 offset0:32 offset1:128
	ds_load_2addr_b32 v[32:33], v77 offset0:64 offset1:160
	;; [unrolled: 1-line block ×7, first 2 shown]
	ds_load_2addr_stride64_b32 v[28:29], v55 offset0:13 offset1:16
	ds_load_2addr_b32 v[36:37], v78 offset0:96 offset1:192
	v_fmac_f32_e32 v62, 0x3f5db3d7, v59
	v_fmamk_f32 v122, v116, 0x3f5db3d7, v15
	v_fmac_f32_e32 v15, 0xbf5db3d7, v116
	v_add_nc_u32_e32 v56, 0x1200, v14
	ds_load_2addr_b32 v[38:39], v83 offset0:32 offset1:128
	ds_load_2addr_b32 v[26:27], v56 offset0:96 offset1:192
	v_add_f32_e32 v116, v122, v117
	v_add_f32_e32 v24, v15, v88
	s_waitcnt lgkmcnt(0)
	s_barrier
	buffer_gl0_inv
	ds_store_2addr_b32 v105, v72, v116 offset1:60
	ds_store_2addr_b32 v105, v24, v13 offset0:120 offset1:180
	v_dual_add_f32 v13, v16, v74 :: v_dual_fmac_f32 v16, -0.5, v123
	v_sub_f32_e32 v24, v68, v93
	v_dual_sub_f32 v68, v122, v117 :: v_dual_sub_f32 v15, v15, v88
	v_add_f32_e32 v72, v87, v23
	s_delay_alu instid0(VALU_DEP_3) | instskip(SKIP_1) | instid1(VALU_DEP_3)
	v_dual_add_f32 v13, v13, v91 :: v_dual_fmamk_f32 v74, v24, 0x3f5db3d7, v16
	v_fmac_f32_e32 v16, 0xbf5db3d7, v24
	v_dual_add_f32 v24, v97, v87 :: v_dual_fmac_f32 v97, -0.5, v72
	ds_store_2addr_b32 v106, v68, v15 offset0:112 offset1:172
	v_sub_f32_e32 v22, v60, v22
	v_add_f32_e32 v15, v16, v69
	v_sub_f32_e32 v16, v16, v69
	v_dual_add_f32 v69, v64, v90 :: v_dual_fmamk_f32 v68, v25, 0x3f5db3d7, v97
	v_fmac_f32_e32 v97, 0xbf5db3d7, v25
	v_add_f32_e32 v25, v96, v64
	v_mul_f32_e32 v64, 0.5, v100
	s_delay_alu instid0(VALU_DEP_4) | instskip(SKIP_1) | instid1(VALU_DEP_4)
	v_fma_f32 v66, -0.5, v69, v96
	v_add_f32_e32 v23, v24, v23
	v_dual_add_f32 v24, v98, v63 :: v_dual_add_f32 v25, v25, v90
	v_add_f32_e32 v70, v13, v20
	s_delay_alu instid0(VALU_DEP_4) | instskip(SKIP_1) | instid1(VALU_DEP_4)
	v_fmamk_f32 v72, v61, 0x3f5db3d7, v66
	v_dual_fmac_f32 v66, 0xbf5db3d7, v61 :: v_dual_sub_f32 v13, v13, v20
	v_add_f32_e32 v59, v25, v19
	v_sub_f32_e32 v19, v25, v19
	s_delay_alu instid0(VALU_DEP_4) | instskip(SKIP_4) | instid1(VALU_DEP_4)
	v_add_f32_e32 v25, v72, v71
	v_dual_sub_f32 v61, v72, v71 :: v_dual_mul_f32 v72, 0.5, v109
	v_add_f32_e32 v71, v66, v62
	v_sub_f32_e32 v62, v66, v62
	v_add_f32_e32 v66, v63, v21
	v_dual_add_f32 v21, v24, v21 :: v_dual_fmac_f32 v72, 0x3f5db3d7, v110
	v_fmac_f32_e32 v64, 0x3f5db3d7, v101
	v_mul_f32_e32 v24, -0.5, v58
	s_delay_alu instid0(VALU_DEP_4) | instskip(NEXT) | instid1(VALU_DEP_4)
	v_fmac_f32_e32 v98, -0.5, v66
	v_dual_mul_f32 v66, 0.5, v119 :: v_dual_sub_f32 v63, v68, v72
	s_delay_alu instid0(VALU_DEP_4)
	v_add_f32_e32 v20, v74, v64
	v_sub_f32_e32 v64, v74, v64
	v_add_f32_e32 v60, v23, v17
	v_sub_f32_e32 v17, v23, v17
	v_dual_add_f32 v23, v68, v72 :: v_dual_add_f32 v58, v103, v102
	v_fmamk_f32 v68, v22, 0x3f5db3d7, v98
	v_fmac_f32_e32 v66, 0x3f5db3d7, v118
	v_fmac_f32_e32 v98, 0xbf5db3d7, v22
	;; [unrolled: 1-line block ×3, first 2 shown]
	ds_store_2addr_b32 v107, v70, v20 offset1:60
	ds_store_2addr_b32 v107, v15, v13 offset0:120 offset1:180
	ds_store_2addr_b32 v104, v64, v16 offset0:112 offset1:172
	ds_store_2addr_b32 v11, v59, v25 offset1:60
	ds_store_2addr_b32 v11, v71, v19 offset0:120 offset1:180
	ds_store_2addr_b32 v114, v61, v62 offset0:112 offset1:172
	ds_store_2addr_b32 v115, v60, v23 offset1:60
	v_lshlrev_b64 v[15:16], 3, v[1:2]
	v_add_f32_e32 v69, v97, v65
	v_sub_f32_e32 v65, v97, v65
	v_add_f32_e32 v22, v21, v58
	v_add_f32_e32 v57, v68, v66
	v_sub_f32_e32 v21, v21, v58
	v_sub_f32_e32 v58, v68, v66
	v_dual_add_f32 v66, v98, v24 :: v_dual_add_nc_u32 v13, 0x2a0, v1
	ds_store_2addr_b32 v115, v69, v17 offset0:120 offset1:180
	ds_store_2addr_b32 v120, v63, v65 offset0:112 offset1:172
	ds_store_2addr_b32 v18, v22, v57 offset1:60
	ds_store_2addr_b32 v18, v66, v21 offset0:120 offset1:180
	v_add_co_u32 v17, s0, s8, v15
	s_delay_alu instid0(VALU_DEP_1) | instskip(SKIP_4) | instid1(VALU_DEP_2)
	v_add_co_ci_u32_e64 v18, s0, s9, v16, s0
	v_add_nc_u32_e32 v2, 0xffffffb8, v1
	v_and_b32_e32 v15, 0xffff, v13
	v_cmp_gt_u32_e64 s0, 0x48, v1
	v_add_nc_u32_e32 v19, 0x360, v1
	v_cndmask_b32_e64 v11, v2, v50, s0
	s_delay_alu instid0(VALU_DEP_4) | instskip(SKIP_1) | instid1(VALU_DEP_4)
	v_mul_u32_u24_e32 v2, 0x2d83, v15
	v_dual_sub_f32 v24, v98, v24 :: v_dual_and_b32 v15, 0xffff, v7
	v_and_b32_e32 v50, 0xffff, v19
	s_delay_alu instid0(VALU_DEP_4) | instskip(NEXT) | instid1(VALU_DEP_4)
	v_lshlrev_b64 v[20:21], 3, v[11:12]
	v_lshrrev_b32_e32 v2, 22, v2
	s_delay_alu instid0(VALU_DEP_4)
	v_mul_u32_u24_e32 v22, 0x2d83, v15
	v_add_co_u32 v15, s0, 0x600, v17
	v_lshlrev_b32_e32 v11, 2, v11
	ds_store_2addr_b32 v121, v58, v24 offset0:112 offset1:172
	v_mul_lo_u16 v24, 0x168, v2
	v_lshrrev_b32_e32 v25, 22, v22
	v_add_co_ci_u32_e64 v16, s0, 0, v18, s0
	v_add_co_u32 v22, s0, s8, v20
	s_delay_alu instid0(VALU_DEP_1)
	v_add_co_ci_u32_e64 v23, s0, s9, v21, s0
	v_sub_nc_u16 v20, v13, v24
	v_mul_lo_u16 v21, 0x168, v25
	v_mul_u32_u24_e32 v24, 0x2d83, v50
	s_waitcnt lgkmcnt(0)
	s_barrier
	v_and_b32_e32 v50, 0xffff, v20
	v_sub_nc_u16 v21, v7, v21
	v_add_nc_u32_e32 v20, 0x3c0, v1
	v_lshrrev_b32_e32 v65, 22, v24
	v_add_co_u32 v24, s0, 0x1000, v17
	s_delay_alu instid0(VALU_DEP_4) | instskip(NEXT) | instid1(VALU_DEP_4)
	v_and_b32_e32 v74, 0xffff, v21
	v_and_b32_e32 v90, 0xffff, v20
	v_add_nc_u32_e32 v21, 0x420, v1
	v_add_co_ci_u32_e64 v25, s0, 0, v18, s0
	v_lshlrev_b32_e32 v72, 3, v50
	buffer_gl0_inv
	s_clause 0x3
	global_load_b64 v[57:58], v[17:18], off offset:2800
	global_load_b64 v[59:60], v[17:18], off offset:3760
	;; [unrolled: 1-line block ×4, first 2 shown]
	v_mul_lo_u16 v89, 0x168, v65
	s_clause 0x3
	global_load_b64 v[65:66], v[15:16], off offset:2800
	global_load_b64 v[68:69], v[22:23], off offset:2800
	;; [unrolled: 1-line block ×3, first 2 shown]
	global_load_b64 v[87:88], v72, s[8:9] offset:2800
	v_mul_u32_u24_e32 v23, 0x2d83, v90
	v_and_b32_e32 v72, 0xffff, v21
	v_add_nc_u32_e32 v22, 0x4e0, v1
	v_sub_nc_u16 v89, v19, v89
	v_lshlrev_b32_e32 v90, 3, v74
	v_lshrrev_b32_e32 v23, 22, v23
	v_mul_u32_u24_e32 v72, 0x2d83, v72
	v_and_b32_e32 v93, 0xffff, v22
	v_and_b32_e32 v91, 0xffff, v89
	;; [unrolled: 1-line block ×3, first 2 shown]
	v_mul_lo_u16 v23, 0x168, v23
	v_lshrrev_b32_e32 v72, 22, v72
	v_mul_u32_u24_e32 v93, 0x2d83, v93
	v_lshlrev_b32_e32 v96, 3, v91
	v_mul_u32_u24_e32 v89, 0x2d83, v89
	v_sub_nc_u16 v97, v20, v23
	v_mul_lo_u16 v98, 0x168, v72
	v_add_nc_u32_e32 v23, 0x540, v1
	v_lshrrev_b32_e32 v93, 22, v93
	v_lshrrev_b32_e32 v89, 22, v89
	v_and_b32_e32 v116, 0xffff, v97
	v_sub_nc_u16 v97, v21, v98
	v_and_b32_e32 v98, 0xffff, v23
	v_mul_lo_u16 v93, 0x168, v93
	v_mul_lo_u16 v99, 0x168, v89
	global_load_b64 v[89:90], v90, s[8:9] offset:2800
	v_and_b32_e32 v117, 0xffff, v97
	global_load_b64 v[96:97], v96, s[8:9] offset:2800
	v_mul_u32_u24_e32 v98, 0x2d83, v98
	v_sub_nc_u16 v99, v8, v99
	v_sub_nc_u16 v93, v22, v93
	v_lshlrev_b32_e32 v100, 3, v116
	v_cmp_lt_u32_e64 s0, 0x47, v1
	v_lshrrev_b32_e32 v101, 22, v98
	v_and_b32_e32 v118, 0xffff, v99
	v_and_b32_e32 v93, 0xffff, v93
	global_load_b64 v[98:99], v100, s[8:9] offset:2800
	v_lshlrev_b32_e32 v100, 3, v117
	v_mul_lo_u16 v102, 0x168, v101
	v_lshlrev_b32_e32 v103, 3, v118
	v_lshlrev_b32_e32 v104, 3, v93
	v_mul_u32_u24_e32 v2, 0xb40, v2
	global_load_b64 v[100:101], v100, s[8:9] offset:2800
	v_sub_nc_u16 v106, v23, v102
	s_clause 0x1
	global_load_b64 v[102:103], v103, s[8:9] offset:2800
	global_load_b64 v[104:105], v104, s[8:9] offset:2800
	v_lshl_add_u32 v93, v93, 2, 0
	v_and_b32_e32 v119, 0xffff, v106
	s_delay_alu instid0(VALU_DEP_1)
	v_lshlrev_b32_e32 v106, 3, v119
	global_load_b64 v[106:107], v106, s[8:9] offset:2800
	ds_load_2addr_b32 v[108:109], v75 offset0:32 offset1:128
	ds_load_2addr_b32 v[110:111], v80 offset0:96 offset1:192
	;; [unrolled: 1-line block ×4, first 2 shown]
	s_waitcnt vmcnt(14) lgkmcnt(3)
	v_mul_f32_e32 v120, v108, v58
	s_waitcnt vmcnt(12)
	v_mul_f32_e32 v121, v109, v62
	v_mul_f32_e32 v58, v48, v58
	;; [unrolled: 1-line block ×3, first 2 shown]
	v_fmac_f32_e32 v120, v48, v57
	s_delay_alu instid0(VALU_DEP_4)
	v_fmac_f32_e32 v121, v49, v61
	ds_load_2addr_b32 v[48:49], v82 offset0:32 offset1:128
	v_fma_f32 v108, v108, v57, -v58
	s_waitcnt vmcnt(10) lgkmcnt(3)
	v_mul_f32_e32 v57, v110, v66
	v_mul_f32_e32 v58, v46, v66
	v_fma_f32 v61, v109, v61, -v62
	s_waitcnt vmcnt(9)
	v_mul_f32_e32 v62, v111, v69
	v_mul_f32_e32 v66, v47, v69
	v_fmac_f32_e32 v57, v46, v65
	v_fma_f32 v109, v110, v65, -v58
	s_waitcnt lgkmcnt(2)
	v_mul_f32_e32 v65, v112, v64
	v_mul_f32_e32 v58, v44, v64
	v_fmac_f32_e32 v62, v47, v68
	v_fma_f32 v110, v111, v68, -v66
	s_delay_alu instid0(VALU_DEP_4)
	v_dual_mul_f32 v64, v113, v60 :: v_dual_fmac_f32 v65, v44, v63
	ds_load_2addr_b32 v[46:47], v78 offset0:96 offset1:192
	v_mul_f32_e32 v44, v45, v60
	s_waitcnt vmcnt(8) lgkmcnt(2)
	v_mul_f32_e32 v60, v114, v71
	v_fma_f32 v111, v112, v63, -v58
	v_mul_f32_e32 v58, v42, v71
	v_fmac_f32_e32 v64, v45, v59
	v_fma_f32 v71, v113, v59, -v44
	v_fmac_f32_e32 v60, v42, v70
	s_waitcnt vmcnt(6) lgkmcnt(1)
	v_dual_mul_f32 v63, v48, v90 :: v_dual_mul_f32 v42, v115, v88
	ds_load_2addr_b32 v[44:45], v83 offset0:32 offset1:128
	v_mul_f32_e32 v59, v43, v88
	v_fma_f32 v88, v114, v70, -v58
	v_mul_f32_e32 v58, v40, v90
	v_fmac_f32_e32 v63, v40, v89
	s_waitcnt vmcnt(5)
	v_mul_f32_e32 v40, v49, v97
	v_dual_fmac_f32 v42, v43, v87 :: v_dual_mul_f32 v43, v41, v97
	v_fma_f32 v87, v115, v87, -v59
	v_fma_f32 v89, v48, v89, -v58
	s_delay_alu instid0(VALU_DEP_4)
	v_fmac_f32_e32 v40, v41, v96
	ds_load_b32 v41, v0 offset:11136
	s_waitcnt vmcnt(4) lgkmcnt(2)
	v_mul_f32_e32 v59, v46, v99
	v_mul_f32_e32 v48, v36, v99
	v_fma_f32 v90, v49, v96, -v43
	s_waitcnt vmcnt(3)
	v_mul_f32_e32 v43, v37, v101
	v_sub_f32_e32 v69, v35, v121
	v_dual_fmac_f32 v59, v36, v98 :: v_dual_mul_f32 v36, v47, v101
	v_fma_f32 v96, v46, v98, -v48
	s_waitcnt vmcnt(2) lgkmcnt(1)
	v_mul_f32_e32 v66, v44, v103
	s_waitcnt vmcnt(1)
	v_mul_f32_e32 v68, v45, v105
	v_mul_f32_e32 v46, v38, v103
	v_fmac_f32_e32 v36, v37, v100
	v_fma_f32 v97, v47, v100, -v43
	v_fmac_f32_e32 v66, v38, v102
	v_fmac_f32_e32 v68, v39, v104
	v_mul_f32_e32 v37, v39, v105
	v_sub_f32_e32 v43, v34, v120
	v_fma_f32 v98, v44, v102, -v46
	ds_load_b32 v99, v54
	ds_load_b32 v100, v53
	ds_load_b32 v101, v81
	ds_load_b32 v102, v0 offset:1920
	ds_load_b32 v103, v0 offset:3840
	s_waitcnt vmcnt(0) lgkmcnt(5)
	v_mul_f32_e32 v38, v41, v107
	v_mul_f32_e32 v39, v95, v107
	v_fma_f32 v104, v45, v104, -v37
	v_fma_f32 v37, v34, 2.0, -v43
	v_lshl_add_u32 v112, v118, 2, 0
	v_fmac_f32_e32 v38, v95, v106
	v_fma_f32 v95, v41, v106, -v39
	v_fma_f32 v39, v35, 2.0, -v69
	ds_load_2addr_b32 v[34:35], v0 offset1:96
	v_sub_f32_e32 v41, v32, v57
	ds_load_2addr_b32 v[44:45], v77 offset0:64 offset1:160
	ds_load_2addr_b32 v[46:47], v52 offset0:64 offset1:160
	ds_load_2addr_stride64_b32 v[48:49], v55 offset0:13 offset1:16
	ds_load_2addr_b32 v[57:58], v56 offset0:96 offset1:192
	s_waitcnt lgkmcnt(0)
	s_barrier
	buffer_gl0_inv
	v_fma_f32 v32, v32, 2.0, -v41
	ds_store_2addr_b32 v0, v37, v39 offset1:96
	ds_store_2addr_b32 v77, v32, v43 offset0:64 offset1:232
	ds_store_2addr_b32 v86, v69, v41 offset0:72 offset1:168
	v_sub_f32_e32 v32, v33, v62
	v_cndmask_b32_e64 v37, 0, 0xb40, s0
	v_sub_f32_e32 v39, v94, v65
	v_sub_f32_e32 v43, v30, v60
	;; [unrolled: 1-line block ×3, first 2 shown]
	v_fma_f32 v33, v33, 2.0, -v32
	v_add3_u32 v11, 0, v37, v11
	v_fma_f32 v37, v94, 2.0, -v39
	v_fma_f32 v30, v30, 2.0, -v43
	v_dual_sub_f32 v105, v34, v108 :: v_dual_add_nc_u32 v94, 0xe00, v14
	v_fma_f32 v60, v92, 2.0, -v41
	v_add_nc_u32_e32 v92, 0xa00, v14
	ds_store_b32 v11, v33
	ds_store_b32 v11, v32 offset:1440
	ds_store_2addr_b32 v92, v37, v60 offset0:104 offset1:200
	ds_store_2addr_b32 v94, v30, v39 offset0:40 offset1:208
	v_sub_f32_e32 v30, v31, v42
	v_fma_f32 v107, v34, 2.0, -v105
	v_lshlrev_b32_e32 v34, 2, v50
	v_sub_f32_e32 v106, v35, v61
	v_sub_f32_e32 v32, v28, v40
	v_fma_f32 v31, v31, 2.0, -v30
	v_sub_f32_e32 v40, v67, v59
	v_add3_u32 v2, 0, v2, v34
	v_sub_f32_e32 v34, v73, v63
	ds_store_2addr_b32 v56, v41, v43 offset0:48 offset1:144
	v_dual_sub_f32 v33, v29, v36 :: v_dual_sub_f32 v36, v27, v38
	v_mul_u32_u24_e32 v37, 0xb40, v72
	v_lshlrev_b32_e32 v38, 2, v117
	v_fma_f32 v39, v73, 2.0, -v34
	v_lshl_add_u32 v72, v74, 2, 0
	ds_store_b32 v2, v31
	ds_store_b32 v2, v30 offset:1440
	v_sub_f32_e32 v31, v51, v66
	v_fma_f32 v108, v35, 2.0, -v106
	v_fma_f32 v28, v28, 2.0, -v32
	v_sub_f32_e32 v35, v26, v68
	v_lshl_add_u32 v74, v91, 2, 0
	v_fma_f32 v30, v67, 2.0, -v40
	v_lshl_add_u32 v91, v116, 2, 0
	v_fma_f32 v29, v29, 2.0, -v33
	v_add3_u32 v73, 0, v37, v38
	ds_store_b32 v72, v39 offset:5760
	ds_store_b32 v72, v34 offset:7200
	;; [unrolled: 1-line block ×6, first 2 shown]
	v_fma_f32 v28, v51, 2.0, -v31
	v_fma_f32 v26, v26, 2.0, -v35
	;; [unrolled: 1-line block ×3, first 2 shown]
	v_lshl_add_u32 v113, v119, 2, 0
	ds_store_b32 v73, v29
	ds_store_b32 v73, v33 offset:1440
	ds_store_b32 v112, v28 offset:8640
	;; [unrolled: 1-line block ×7, first 2 shown]
	v_dual_sub_f32 v26, v44, v109 :: v_dual_sub_f32 v27, v45, v110
	s_waitcnt lgkmcnt(0)
	s_barrier
	buffer_gl0_inv
	ds_load_b32 v41, v0 offset:1920
	ds_load_b32 v39, v0 offset:3840
	ds_load_b32 v38, v54
	ds_load_b32 v40, v53
	ds_load_b32 v42, v81
	ds_load_b32 v43, v0 offset:11136
	ds_load_2addr_b32 v[36:37], v0 offset1:96
	ds_load_2addr_b32 v[50:51], v75 offset0:32 offset1:128
	ds_load_2addr_b32 v[34:35], v77 offset0:64 offset1:160
	ds_load_2addr_b32 v[59:60], v80 offset0:96 offset1:192
	ds_load_2addr_b32 v[61:62], v76 offset0:32 offset1:128
	ds_load_2addr_b32 v[32:33], v52 offset0:64 offset1:160
	ds_load_2addr_b32 v[63:64], v79 offset0:96 offset1:192
	ds_load_2addr_b32 v[65:66], v82 offset0:32 offset1:128
	ds_load_2addr_stride64_b32 v[30:31], v55 offset0:13 offset1:16
	ds_load_2addr_b32 v[67:68], v78 offset0:96 offset1:192
	ds_load_2addr_b32 v[69:70], v83 offset0:32 offset1:128
	;; [unrolled: 1-line block ×3, first 2 shown]
	s_waitcnt lgkmcnt(0)
	s_barrier
	buffer_gl0_inv
	ds_store_2addr_b32 v0, v107, v108 offset1:96
	v_fma_f32 v44, v44, 2.0, -v26
	v_sub_f32_e32 v107, v101, v111
	ds_store_2addr_b32 v86, v106, v26 offset0:72 offset1:168
	v_sub_f32_e32 v26, v102, v71
	v_fma_f32 v45, v45, 2.0, -v27
	ds_store_2addr_b32 v77, v44, v105 offset0:64 offset1:232
	v_fma_f32 v44, v101, 2.0, -v107
	v_sub_f32_e32 v71, v46, v88
	v_fma_f32 v86, v102, 2.0, -v26
	ds_store_b32 v11, v45
	ds_store_b32 v11, v27 offset:1440
	v_sub_f32_e32 v11, v47, v87
	v_sub_f32_e32 v45, v48, v90
	v_fma_f32 v27, v46, 2.0, -v71
	ds_store_2addr_b32 v92, v44, v86 offset0:104 offset1:200
	v_sub_f32_e32 v44, v100, v89
	v_fma_f32 v46, v47, 2.0, -v11
	v_sub_f32_e32 v47, v103, v96
	ds_store_2addr_b32 v94, v27, v107 offset0:40 offset1:208
	ds_store_2addr_b32 v56, v26, v71 offset0:48 offset1:144
	v_fma_f32 v27, v48, 2.0, -v45
	v_fma_f32 v26, v100, 2.0, -v44
	ds_store_b32 v2, v46
	ds_store_b32 v2, v11 offset:1440
	v_dual_sub_f32 v2, v49, v97 :: v_dual_sub_f32 v11, v99, v98
	v_sub_f32_e32 v46, v57, v104
	v_sub_f32_e32 v48, v58, v95
	v_fma_f32 v71, v103, 2.0, -v47
	s_delay_alu instid0(VALU_DEP_4)
	v_fma_f32 v49, v49, 2.0, -v2
	v_fma_f32 v86, v99, 2.0, -v11
	v_fma_f32 v57, v57, 2.0, -v46
	v_fma_f32 v58, v58, 2.0, -v48
	ds_store_b32 v72, v26 offset:5760
	ds_store_b32 v72, v44 offset:7200
	;; [unrolled: 1-line block ×6, first 2 shown]
	ds_store_b32 v73, v49
	ds_store_b32 v73, v2 offset:1440
	ds_store_b32 v112, v86 offset:8640
	;; [unrolled: 1-line block ×7, first 2 shown]
	v_add_co_u32 v2, s0, s8, v9
	s_delay_alu instid0(VALU_DEP_1) | instskip(SKIP_1) | instid1(VALU_DEP_3)
	v_add_co_ci_u32_e64 v10, s0, s9, v10, s0
	v_subrev_nc_u32_e32 v9, 48, v1
	v_add_co_u32 v57, s0, 0x1000, v2
	s_delay_alu instid0(VALU_DEP_1) | instskip(SKIP_1) | instid1(VALU_DEP_1)
	v_add_co_ci_u32_e64 v58, s0, 0, v10, s0
	v_add_co_u32 v26, s0, 0x2000, v17
	v_add_co_ci_u32_e64 v27, s0, 0, v18, s0
	v_cmp_gt_u32_e64 s0, 48, v1
	v_dual_mov_b32 v72, v12 :: v_dual_add_nc_u32 v71, 0x240, v1
	s_waitcnt lgkmcnt(0)
	s_barrier
	s_delay_alu instid0(VALU_DEP_2)
	v_cndmask_b32_e64 v11, v9, v13, s0
	buffer_gl0_inv
	v_lshlrev_b64 v[71:72], 3, v[71:72]
	s_clause 0x2
	global_load_b64 v[44:45], v[24:25], off offset:1584
	global_load_b64 v[46:47], v[24:25], off offset:2352
	;; [unrolled: 1-line block ×3, first 2 shown]
	v_lshlrev_b64 v[90:91], 3, v[11:12]
	s_clause 0x2
	global_load_b64 v[73:74], v[24:25], off offset:3888
	global_load_b64 v[86:87], v[57:58], off offset:1584
	global_load_b64 v[88:89], v[26:27], off offset:1328
	v_add_nc_u32_e32 v92, 0x210, v1
	v_add_co_u32 v57, s0, s8, v71
	s_delay_alu instid0(VALU_DEP_1) | instskip(SKIP_1) | instid1(VALU_DEP_1)
	v_add_co_ci_u32_e64 v58, s0, s9, v72, s0
	v_add_co_u32 v9, s0, s8, v90
	v_add_co_ci_u32_e64 v91, s0, s9, v91, s0
	s_delay_alu instid0(VALU_DEP_4) | instskip(NEXT) | instid1(VALU_DEP_1)
	v_add_co_u32 v71, s0, 0x1000, v57
	v_add_co_ci_u32_e64 v72, s0, 0, v58, s0
	v_mov_b32_e32 v93, v12
	v_add_co_u32 v90, s0, 0x1000, v9
	global_load_b64 v[71:72], v[71:72], off offset:1584
	v_add_co_ci_u32_e64 v91, s0, 0, v91, s0
	v_lshlrev_b64 v[92:93], 3, v[92:93]
	s_clause 0x2
	global_load_b64 v[90:91], v[90:91], off offset:1584
	global_load_b64 v[94:95], v[24:25], off offset:2736
	;; [unrolled: 1-line block ×3, first 2 shown]
	v_dual_mov_b32 v99, v12 :: v_dual_add_nc_u32 v98, 0x270, v1
	v_add_co_u32 v9, s0, s8, v92
	s_delay_alu instid0(VALU_DEP_1) | instskip(NEXT) | instid1(VALU_DEP_3)
	v_add_co_ci_u32_e64 v101, s0, s9, v93, s0
	v_lshlrev_b64 v[98:99], 3, v[98:99]
	s_delay_alu instid0(VALU_DEP_3) | instskip(NEXT) | instid1(VALU_DEP_1)
	v_add_co_u32 v100, s0, 0x1000, v9
	v_add_co_ci_u32_e64 v101, s0, 0, v101, s0
	s_clause 0x1
	global_load_b64 v[24:25], v[24:25], off offset:3504
	global_load_b64 v[92:93], v[26:27], off offset:176
	v_add_co_u32 v9, s0, s8, v98
	s_delay_alu instid0(VALU_DEP_1) | instskip(SKIP_4) | instid1(VALU_DEP_1)
	v_add_co_ci_u32_e64 v99, s0, s9, v99, s0
	s_clause 0x1
	global_load_b64 v[102:103], v[26:27], off offset:944
	global_load_b64 v[100:101], v[100:101], off offset:1584
	v_add_co_u32 v98, s0, 0x1000, v9
	v_add_co_ci_u32_e64 v99, s0, 0, v99, s0
	v_cmp_lt_u32_e64 s0, 47, v1
	v_lshlrev_b32_e32 v11, 2, v11
	global_load_b64 v[98:99], v[98:99], off offset:1584
	ds_load_2addr_b32 v[104:105], v75 offset0:32 offset1:128
	ds_load_2addr_b32 v[106:107], v80 offset0:96 offset1:192
	;; [unrolled: 1-line block ×4, first 2 shown]
	s_waitcnt vmcnt(13) lgkmcnt(3)
	v_dual_mul_f32 v9, v104, v45 :: v_dual_mul_f32 v112, v105, v47
	v_mul_f32_e32 v45, v50, v45
	v_mul_f32_e32 v47, v51, v47
	s_delay_alu instid0(VALU_DEP_3)
	v_dual_fmac_f32 v9, v50, v44 :: v_dual_fmac_f32 v112, v51, v46
	s_waitcnt vmcnt(12) lgkmcnt(2)
	v_mul_f32_e32 v51, v106, v49
	v_fma_f32 v50, v104, v44, -v45
	v_mul_f32_e32 v49, v59, v49
	v_fma_f32 v104, v105, v46, -v47
	s_waitcnt vmcnt(11)
	v_mul_f32_e32 v105, v107, v74
	v_mul_f32_e32 v46, v60, v74
	ds_load_2addr_b32 v[44:45], v82 offset0:32 offset1:128
	v_fmac_f32_e32 v51, v59, v48
	s_waitcnt vmcnt(10) lgkmcnt(2)
	v_mul_f32_e32 v59, v108, v87
	v_fma_f32 v74, v106, v48, -v49
	v_fmac_f32_e32 v105, v60, v73
	v_fma_f32 v106, v107, v73, -v46
	v_mul_f32_e32 v48, v61, v87
	v_fmac_f32_e32 v59, v61, v86
	s_waitcnt vmcnt(9)
	v_mul_f32_e32 v60, v109, v89
	v_mul_f32_e32 v49, v62, v89
	ds_load_2addr_b32 v[46:47], v78 offset0:96 offset1:192
	s_waitcnt vmcnt(8) lgkmcnt(2)
	v_mul_f32_e32 v61, v110, v72
	v_fma_f32 v86, v108, v86, -v48
	v_fmac_f32_e32 v60, v62, v88
	v_fma_f32 v87, v109, v88, -v49
	v_mul_f32_e32 v62, v63, v72
	s_waitcnt vmcnt(7)
	v_mul_f32_e32 v88, v111, v91
	v_fmac_f32_e32 v61, v63, v71
	v_mul_f32_e32 v63, v64, v91
	ds_load_2addr_b32 v[48:49], v83 offset0:32 offset1:128
	s_waitcnt vmcnt(5) lgkmcnt(2)
	v_mul_f32_e32 v89, v44, v97
	v_fmac_f32_e32 v88, v64, v90
	v_mul_f32_e32 v72, v65, v97
	v_fma_f32 v90, v111, v90, -v63
	ds_load_b32 v63, v0 offset:11136
	v_fma_f32 v91, v110, v71, -v62
	v_fmac_f32_e32 v89, v65, v96
	v_fma_f32 v96, v44, v96, -v72
	v_mul_f32_e32 v44, v45, v95
	v_mul_f32_e32 v62, v66, v95
	s_waitcnt vmcnt(4) lgkmcnt(2)
	v_mul_f32_e32 v95, v46, v25
	v_mul_f32_e32 v25, v67, v25
	s_waitcnt vmcnt(3)
	v_mul_f32_e32 v97, v47, v93
	v_dual_sub_f32 v9, v36, v9 :: v_dual_fmac_f32 v44, v66, v94
	v_fmac_f32_e32 v95, v67, v24
	v_fma_f32 v24, v46, v24, -v25
	s_waitcnt vmcnt(2)
	v_dual_mul_f32 v25, v68, v93 :: v_dual_mul_f32 v46, v69, v103
	v_fmac_f32_e32 v97, v68, v92
	v_fma_f32 v94, v45, v94, -v62
	s_waitcnt lgkmcnt(1)
	v_mul_f32_e32 v45, v48, v103
	v_fma_f32 v92, v47, v92, -v25
	v_fma_f32 v93, v48, v102, -v46
	s_waitcnt vmcnt(0) lgkmcnt(0)
	v_mul_f32_e32 v25, v63, v99
	v_dual_mul_f32 v46, v43, v99 :: v_dual_sub_f32 v47, v37, v112
	v_mul_f32_e32 v62, v49, v101
	s_delay_alu instid0(VALU_DEP_3) | instskip(NEXT) | instid1(VALU_DEP_3)
	v_dual_mul_f32 v64, v70, v101 :: v_dual_fmac_f32 v25, v43, v98
	v_fma_f32 v98, v63, v98, -v46
	v_dual_sub_f32 v43, v34, v51 :: v_dual_sub_f32 v46, v35, v105
	v_fma_f32 v36, v36, 2.0, -v9
	v_fma_f32 v37, v37, 2.0, -v47
	v_fmac_f32_e32 v45, v69, v102
	s_delay_alu instid0(VALU_DEP_4)
	v_fma_f32 v34, v34, 2.0, -v43
	v_fma_f32 v35, v35, 2.0, -v46
	v_fmac_f32_e32 v62, v70, v100
	ds_load_b32 v101, v54
	ds_load_b32 v102, v53
	;; [unrolled: 1-line block ×3, first 2 shown]
	ds_load_b32 v107, v0 offset:1920
	ds_load_b32 v108, v0 offset:3840
	v_fma_f32 v99, v49, v100, -v64
	ds_load_2addr_b32 v[64:65], v0 offset1:96
	ds_load_2addr_b32 v[66:67], v77 offset0:64 offset1:160
	ds_load_2addr_b32 v[68:69], v52 offset0:64 offset1:160
	ds_load_2addr_stride64_b32 v[70:71], v55 offset0:13 offset1:16
	ds_load_2addr_b32 v[72:73], v56 offset0:96 offset1:192
	s_waitcnt lgkmcnt(0)
	s_barrier
	buffer_gl0_inv
	ds_store_2addr_b32 v0, v36, v37 offset1:96
	ds_store_2addr_b32 v85, v9, v47 offset0:80 offset1:176
	ds_store_2addr_b32 v77, v34, v35 offset0:64 offset1:160
	v_sub_f32_e32 v34, v42, v59
	v_dual_sub_f32 v36, v41, v60 :: v_dual_sub_f32 v9, v32, v61
	v_sub_f32_e32 v35, v33, v88
	ds_store_2addr_b32 v84, v43, v46 offset0:144 offset1:240
	v_fma_f32 v37, v42, 2.0, -v34
	v_cndmask_b32_e64 v42, 0, 0x1680, s0
	v_fma_f32 v41, v41, 2.0, -v36
	v_fma_f32 v32, v32, 2.0, -v9
	ds_store_b32 v81, v37
	ds_store_b32 v81, v34 offset:2880
	v_dual_sub_f32 v34, v40, v89 :: v_dual_sub_f32 v37, v30, v44
	v_fma_f32 v33, v33, 2.0, -v35
	v_add3_u32 v11, 0, v42, v11
	ds_store_b32 v0, v41 offset:1920
	ds_store_b32 v0, v36 offset:4800
	;; [unrolled: 1-line block ×4, first 2 shown]
	v_sub_f32_e32 v32, v39, v95
	v_sub_f32_e32 v36, v31, v97
	v_fma_f32 v9, v40, 2.0, -v34
	v_fma_f32 v30, v30, 2.0, -v37
	v_add_nc_u32_e32 v88, 0x1600, v14
	v_add_nc_u32_e32 v89, 0x2400, v14
	ds_store_b32 v11, v33
	ds_store_b32 v11, v35 offset:2880
	ds_store_2addr_b32 v88, v9, v30 offset0:80 offset1:176
	ds_store_2addr_b32 v89, v37, v32 offset1:96
	v_fma_f32 v9, v39, 2.0, -v32
	v_fma_f32 v30, v31, 2.0, -v36
	v_add_nc_u32_e32 v95, 0x1800, v14
	v_dual_sub_f32 v31, v38, v45 :: v_dual_sub_f32 v32, v28, v62
	v_sub_f32_e32 v25, v29, v25
	v_add_nc_u32_e32 v97, 0x2600, v14
	ds_store_2addr_b32 v95, v9, v30 offset0:144 offset1:240
	v_fma_f32 v9, v38, 2.0, -v31
	v_fma_f32 v28, v28, 2.0, -v32
	v_add_nc_u32_e32 v100, 0x1c00, v14
	v_fma_f32 v29, v29, 2.0, -v25
	v_add_nc_u32_e32 v105, 0x2000, v14
	v_add_nc_u32_e32 v109, 0x2800, v14
	ds_store_2addr_b32 v97, v36, v31 offset0:64 offset1:160
	v_sub_f32_e32 v110, v64, v50
	ds_store_2addr_b32 v100, v9, v28 offset0:80 offset1:176
	ds_store_2addr_b32 v105, v29, v34 offset0:16 offset1:160
	;; [unrolled: 1-line block ×3, first 2 shown]
	s_waitcnt lgkmcnt(0)
	s_barrier
	buffer_gl0_inv
	ds_load_b32 v25, v0 offset:1920
	ds_load_b32 v61, v0 offset:3840
	ds_load_b32 v62, v54
	ds_load_b32 v60, v53
	;; [unrolled: 1-line block ×3, first 2 shown]
	ds_load_b32 v63, v0 offset:11136
	ds_load_2addr_b32 v[28:29], v0 offset1:96
	ds_load_2addr_b32 v[36:37], v75 offset0:32 offset1:128
	ds_load_2addr_b32 v[46:47], v77 offset0:64 offset1:160
	;; [unrolled: 1-line block ×7, first 2 shown]
	ds_load_2addr_stride64_b32 v[32:33], v55 offset0:13 offset1:16
	ds_load_2addr_b32 v[44:45], v78 offset0:96 offset1:192
	ds_load_2addr_b32 v[48:49], v83 offset0:32 offset1:128
	;; [unrolled: 1-line block ×3, first 2 shown]
	v_sub_f32_e32 v104, v65, v104
	s_waitcnt lgkmcnt(0)
	s_barrier
	buffer_gl0_inv
	v_sub_f32_e32 v9, v66, v74
	ds_store_2addr_b32 v85, v110, v104 offset0:80 offset1:176
	v_sub_f32_e32 v74, v67, v106
	v_sub_f32_e32 v85, v103, v86
	v_fma_f32 v64, v64, 2.0, -v110
	v_fma_f32 v65, v65, 2.0, -v104
	;; [unrolled: 1-line block ×3, first 2 shown]
	v_sub_f32_e32 v86, v107, v87
	v_fma_f32 v67, v67, 2.0, -v74
	ds_store_2addr_b32 v84, v9, v74 offset0:144 offset1:240
	v_fma_f32 v9, v103, 2.0, -v85
	ds_store_2addr_b32 v0, v64, v65 offset1:96
	v_sub_f32_e32 v65, v68, v91
	v_fma_f32 v64, v107, 2.0, -v86
	ds_store_2addr_b32 v77, v66, v67 offset0:64 offset1:160
	ds_store_b32 v81, v9
	ds_store_b32 v81, v85 offset:2880
	v_dual_sub_f32 v9, v69, v90 :: v_dual_sub_f32 v66, v102, v96
	v_sub_f32_e32 v67, v70, v94
	v_fma_f32 v68, v68, 2.0, -v65
	ds_store_b32 v0, v64 offset:1920
	ds_store_b32 v0, v86 offset:4800
	v_fma_f32 v64, v69, 2.0, -v9
	v_fma_f32 v69, v102, 2.0, -v66
	;; [unrolled: 1-line block ×3, first 2 shown]
	ds_store_b32 v14, v68 offset:2304
	ds_store_b32 v14, v65 offset:5184
	ds_store_b32 v11, v64
	ds_store_b32 v11, v9 offset:2880
	ds_store_2addr_b32 v88, v69, v70 offset0:80 offset1:176
	v_sub_f32_e32 v9, v108, v24
	v_dual_sub_f32 v11, v71, v92 :: v_dual_sub_f32 v14, v101, v93
	v_sub_f32_e32 v24, v72, v99
	v_sub_f32_e32 v64, v73, v98
	s_delay_alu instid0(VALU_DEP_4) | instskip(NEXT) | instid1(VALU_DEP_4)
	v_fma_f32 v65, v108, 2.0, -v9
	v_fma_f32 v68, v71, 2.0, -v11
	;; [unrolled: 1-line block ×5, first 2 shown]
	ds_store_2addr_b32 v89, v67, v9 offset1:96
	ds_store_2addr_b32 v95, v65, v68 offset0:144 offset1:240
	ds_store_2addr_b32 v97, v11, v14 offset0:64 offset1:160
	;; [unrolled: 1-line block ×5, first 2 shown]
	s_waitcnt lgkmcnt(0)
	s_barrier
	buffer_gl0_inv
	s_and_saveexec_b32 s0, vcc_lo
	s_cbranch_execz .LBB0_15
; %bb.14:
	v_mov_b32_e32 v24, v12
	v_add_co_u32 v11, vcc_lo, 0x300, v17
	v_add_co_ci_u32_e32 v73, vcc_lo, 0, v18, vcc_lo
	s_delay_alu instid0(VALU_DEP_3) | instskip(SKIP_3) | instid1(VALU_DEP_4)
	v_lshlrev_b64 v[64:65], 3, v[23:24]
	v_add_co_u32 v68, vcc_lo, 0x900, v17
	v_mov_b32_e32 v23, v12
	v_add_co_ci_u32_e32 v69, vcc_lo, 0, v18, vcc_lo
	v_add_co_u32 v14, vcc_lo, s8, v64
	v_dual_mov_b32 v9, v12 :: v_dual_add_nc_u32 v96, 0x120, v1
	v_add_co_ci_u32_e32 v24, vcc_lo, s9, v65, vcc_lo
	v_lshlrev_b64 v[22:23], 3, v[22:23]
	s_delay_alu instid0(VALU_DEP_4) | instskip(NEXT) | instid1(VALU_DEP_4)
	v_add_co_u32 v64, vcc_lo, 0x2000, v14
	v_lshlrev_b64 v[8:9], 3, v[8:9]
	s_delay_alu instid0(VALU_DEP_4) | instskip(NEXT) | instid1(VALU_DEP_4)
	v_add_co_ci_u32_e32 v65, vcc_lo, 0, v24, vcc_lo
	v_add_co_u32 v14, vcc_lo, s8, v22
	v_add_co_ci_u32_e32 v22, vcc_lo, s9, v23, vcc_lo
	s_delay_alu instid0(VALU_DEP_4) | instskip(SKIP_1) | instid1(VALU_DEP_4)
	v_add_co_u32 v23, vcc_lo, s8, v8
	v_add_co_ci_u32_e32 v24, vcc_lo, s9, v9, vcc_lo
	v_add_co_u32 v8, vcc_lo, 0x2000, v14
	s_delay_alu instid0(VALU_DEP_4) | instskip(NEXT) | instid1(VALU_DEP_4)
	v_add_co_ci_u32_e32 v9, vcc_lo, 0, v22, vcc_lo
	v_add_co_u32 v23, vcc_lo, 0x2000, v23
	v_dual_mov_b32 v22, v12 :: v_dual_add_nc_u32 v97, 0x180, v1
	v_add_co_ci_u32_e32 v24, vcc_lo, 0, v24, vcc_lo
	v_add_co_u32 v74, vcc_lo, 0xf00, v17
	v_add_co_ci_u32_e32 v85, vcc_lo, 0, v18, vcc_lo
	s_delay_alu instid0(VALU_DEP_4)
	v_lshlrev_b64 v[17:18], 3, v[21:22]
	v_mov_b32_e32 v21, v12
	s_clause 0x2
	global_load_b64 v[64:65], v[64:65], off offset:3248
	global_load_b64 v[66:67], v[8:9], off offset:3248
	;; [unrolled: 1-line block ×3, first 2 shown]
	v_add_nc_u32_e32 v113, 0x1e0, v1
	v_mad_u64_u32 v[86:87], null, s2, v5, 0
	v_add_co_u32 v14, vcc_lo, s8, v17
	v_add_co_ci_u32_e32 v18, vcc_lo, s9, v18, vcc_lo
	v_lshlrev_b64 v[8:9], 3, v[20:21]
	s_delay_alu instid0(VALU_DEP_3) | instskip(SKIP_1) | instid1(VALU_DEP_4)
	v_add_co_u32 v17, vcc_lo, 0x2000, v14
	v_mov_b32_e32 v20, v12
	v_add_co_ci_u32_e32 v18, vcc_lo, 0, v18, vcc_lo
	s_delay_alu instid0(VALU_DEP_4) | instskip(SKIP_1) | instid1(VALU_DEP_4)
	v_add_co_u32 v14, vcc_lo, s8, v8
	v_add_co_ci_u32_e32 v21, vcc_lo, s9, v9, vcc_lo
	v_lshlrev_b64 v[8:9], 3, v[19:20]
	s_delay_alu instid0(VALU_DEP_3) | instskip(NEXT) | instid1(VALU_DEP_3)
	v_add_co_u32 v19, vcc_lo, 0x2000, v14
	v_add_co_ci_u32_e32 v20, vcc_lo, 0, v21, vcc_lo
	v_mov_b32_e32 v14, v12
	s_delay_alu instid0(VALU_DEP_4)
	v_add_co_u32 v21, vcc_lo, s8, v8
	v_add_co_ci_u32_e32 v9, vcc_lo, s9, v9, vcc_lo
	v_add_co_u32 v68, vcc_lo, 0x2000, v68
	v_mov_b32_e32 v8, v12
	v_add_co_ci_u32_e32 v69, vcc_lo, 0, v69, vcc_lo
	v_add_co_u32 v15, vcc_lo, 0x2000, v15
	v_add_co_ci_u32_e32 v16, vcc_lo, 0, v16, vcc_lo
	v_add_co_u32 v70, vcc_lo, 0x2000, v21
	v_lshlrev_b64 v[7:8], 3, v[7:8]
	v_add_co_ci_u32_e32 v71, vcc_lo, 0, v9, vcc_lo
	v_lshlrev_b64 v[13:14], 3, v[13:14]
	v_add_co_u32 v72, vcc_lo, 0x2000, v11
	v_add_co_ci_u32_e32 v73, vcc_lo, 0, v73, vcc_lo
	v_add_co_u32 v9, vcc_lo, s8, v7
	v_add_co_ci_u32_e32 v11, vcc_lo, s9, v8, vcc_lo
	s_clause 0x1
	global_load_b64 v[68:69], v[68:69], off offset:3248
	global_load_b64 v[15:16], v[15:16], off offset:3248
	v_add_co_u32 v21, vcc_lo, s8, v13
	v_add_co_ci_u32_e32 v24, vcc_lo, s9, v14, vcc_lo
	v_add_co_u32 v13, vcc_lo, 0x2000, v9
	global_load_b64 v[7:8], v[72:73], off offset:3248
	v_add_co_ci_u32_e32 v14, vcc_lo, 0, v11, vcc_lo
	v_add_co_u32 v72, vcc_lo, 0x2000, v21
	v_add_co_ci_u32_e32 v73, vcc_lo, 0, v24, vcc_lo
	v_add_co_u32 v57, vcc_lo, 0x2000, v57
	;; [unrolled: 2-line block ×4, first 2 shown]
	v_add_co_ci_u32_e32 v10, vcc_lo, 0, v10, vcc_lo
	s_clause 0x8
	global_load_b64 v[17:18], v[17:18], off offset:3248
	global_load_b64 v[19:20], v[19:20], off offset:3248
	global_load_b64 v[70:71], v[70:71], off offset:3248
	global_load_b64 v[13:14], v[13:14], off offset:3248
	global_load_b64 v[72:73], v[72:73], off offset:3248
	global_load_b64 v[57:58], v[57:58], off offset:3248
	global_load_b64 v[84:85], v[84:85], off offset:3248
	global_load_b64 v[9:10], v[9:10], off offset:3248
	global_load_b64 v[26:27], v[26:27], off offset:3248
	v_add_nc_u32_e32 v21, 0x60, v1
	v_mul_lo_u32 v2, s3, v5
	v_mul_lo_u32 v11, s2, v6
	ds_load_2addr_b32 v[5:6], v56 offset0:96 offset1:192
	ds_load_2addr_b32 v[88:89], v83 offset0:32 offset1:128
	ds_load_2addr_stride64_b32 v[55:56], v55 offset0:13 offset1:16
	ds_load_2addr_b32 v[90:91], v78 offset0:96 offset1:192
	ds_load_2addr_b32 v[82:83], v82 offset0:32 offset1:128
	;; [unrolled: 1-line block ×4, first 2 shown]
	ds_load_b32 v54, v54
	ds_load_b32 v108, v53
	;; [unrolled: 1-line block ×3, first 2 shown]
	ds_load_b32 v110, v0 offset:11136
	ds_load_b32 v111, v0 offset:3840
	ds_load_b32 v112, v0 offset:1920
	ds_load_2addr_b32 v[52:53], v76 offset0:32 offset1:128
	ds_load_2addr_b32 v[76:77], v77 offset0:64 offset1:160
	;; [unrolled: 1-line block ×3, first 2 shown]
	ds_load_2addr_b32 v[94:95], v0 offset1:96
	ds_load_2addr_b32 v[74:75], v75 offset0:32 offset1:128
	v_lshrrev_b32_e32 v0, 5, v1
	v_lshrrev_b32_e32 v98, 5, v21
	v_add_nc_u32_e32 v24, 0xc0, v1
	v_lshrrev_b32_e32 v100, 5, v96
	v_lshrrev_b32_e32 v101, 5, v97
	v_mul_hi_u32 v0, 0x5b05b06, v0
	v_add3_u32 v87, v87, v11, v2
	v_mul_hi_u32 v11, 0x5b05b06, v98
	v_lshrrev_b32_e32 v99, 5, v24
	v_lshlrev_b64 v[2:3], 3, v[3:4]
	v_mul_hi_u32 v104, 0x5b05b06, v100
	v_lshlrev_b64 v[86:87], 3, v[86:87]
	v_mul_hi_u32 v114, 0x5b05b06, v101
	v_mul_hi_u32 v103, 0x5b05b06, v99
	v_mul_u32_u24_e32 v0, 0x5a0, v0
	v_mul_u32_u24_e32 v4, 0x5a0, v11
	v_lshrrev_b32_e32 v102, 5, v113
	v_add_co_u32 v86, vcc_lo, s6, v86
	s_delay_alu instid0(VALU_DEP_4) | instskip(NEXT) | instid1(VALU_DEP_4)
	v_sub_nc_u32_e32 v0, v1, v0
	v_sub_nc_u32_e32 v4, v21, v4
	v_mul_u32_u24_e32 v98, 0x5a0, v103
	v_add_co_ci_u32_e32 v87, vcc_lo, s7, v87, vcc_lo
	s_delay_alu instid0(VALU_DEP_4) | instskip(NEXT) | instid1(VALU_DEP_4)
	v_lshlrev_b32_e32 v101, 3, v0
	v_mad_u32_u24 v11, 0xb40, v11, v4
	v_add_co_u32 v0, vcc_lo, v86, v2
	v_mul_u32_u24_e32 v99, 0x5a0, v104
	v_sub_nc_u32_e32 v21, v24, v98
	v_add_co_ci_u32_e32 v2, vcc_lo, v87, v3, vcc_lo
	v_lshlrev_b64 v[86:87], 3, v[11:12]
	v_add_nc_u32_e32 v11, 0x5a0, v11
	v_mul_u32_u24_e32 v100, 0x5a0, v114
	v_sub_nc_u32_e32 v24, v96, v99
	v_add_co_u32 v3, vcc_lo, v0, v101
	s_delay_alu instid0(VALU_DEP_4) | instskip(SKIP_4) | instid1(VALU_DEP_4)
	v_lshlrev_b64 v[98:99], 3, v[11:12]
	v_mad_u32_u24 v11, 0xb40, v103, v21
	v_sub_nc_u32_e32 v116, v97, v100
	v_mul_hi_u32 v115, 0x5b05b06, v102
	v_add_co_ci_u32_e32 v4, vcc_lo, 0, v2, vcc_lo
	v_lshlrev_b64 v[100:101], 3, v[11:12]
	v_add_nc_u32_e32 v11, 0x5a0, v11
	v_add_co_u32 v96, vcc_lo, 0x2000, v3
	s_delay_alu instid0(VALU_DEP_4) | instskip(NEXT) | instid1(VALU_DEP_3)
	v_add_co_ci_u32_e32 v97, vcc_lo, 0, v4, vcc_lo
	v_lshlrev_b64 v[102:103], 3, v[11:12]
	v_mad_u32_u24 v11, 0xb40, v104, v24
	v_add_co_u32 v86, vcc_lo, v0, v86
	v_add_co_ci_u32_e32 v87, vcc_lo, v2, v87, vcc_lo
	s_delay_alu instid0(VALU_DEP_3) | instskip(SKIP_3) | instid1(VALU_DEP_3)
	v_lshlrev_b64 v[104:105], 3, v[11:12]
	v_add_nc_u32_e32 v11, 0x5a0, v11
	v_add_co_u32 v98, vcc_lo, v0, v98
	v_add_co_ci_u32_e32 v99, vcc_lo, v2, v99, vcc_lo
	v_lshlrev_b64 v[106:107], 3, v[11:12]
	v_mad_u32_u24 v11, 0xb40, v114, v116
	v_add_co_u32 v100, vcc_lo, v0, v100
	v_add_co_ci_u32_e32 v101, vcc_lo, v2, v101, vcc_lo
	v_add_co_u32 v102, vcc_lo, v0, v102
	v_add_co_ci_u32_e32 v103, vcc_lo, v2, v103, vcc_lo
	;; [unrolled: 2-line block ×3, first 2 shown]
	s_waitcnt vmcnt(11) lgkmcnt(2)
	v_mul_f32_e32 v24, v81, v69
	s_waitcnt vmcnt(10)
	v_dual_mul_f32 v114, v80, v16 :: v_dual_mul_f32 v21, v51, v69
	s_delay_alu instid0(VALU_DEP_2) | instskip(NEXT) | instid1(VALU_DEP_2)
	v_fmac_f32_e32 v24, v51, v68
	v_fmac_f32_e32 v114, v50, v15
	s_waitcnt vmcnt(9) lgkmcnt(0)
	v_mul_f32_e32 v116, v75, v8
	v_mul_f32_e32 v69, v50, v16
	;; [unrolled: 1-line block ×3, first 2 shown]
	v_fma_f32 v8, v68, v81, -v21
	v_mul_f32_e32 v68, v49, v67
	v_dual_fmac_f32 v116, v37, v7 :: v_dual_mul_f32 v37, v63, v65
	s_delay_alu instid0(VALU_DEP_4) | instskip(NEXT) | instid1(VALU_DEP_4)
	v_fma_f32 v50, v7, v75, -v16
	v_sub_f32_e32 v8, v77, v8
	v_fma_f32 v21, v15, v80, -v69
	v_sub_f32_e32 v15, v46, v114
	v_mul_f32_e32 v65, v110, v65
	v_dual_sub_f32 v51, v95, v50 :: v_dual_sub_f32 v50, v29, v116
	v_mul_f32_e32 v67, v89, v67
	s_waitcnt vmcnt(8)
	v_dual_mul_f32 v69, v48, v23 :: v_dual_mul_f32 v80, v45, v18
	s_waitcnt vmcnt(7)
	v_dual_mul_f32 v75, v88, v23 :: v_dual_mul_f32 v114, v90, v20
	v_dual_mul_f32 v81, v91, v18 :: v_dual_mul_f32 v18, v44, v20
	s_waitcnt vmcnt(5)
	v_dual_mul_f32 v116, v43, v71 :: v_dual_mul_f32 v117, v42, v14
	;; [unrolled: 3-line block ×4, first 2 shown]
	v_dual_mul_f32 v85, v53, v85 :: v_dual_mul_f32 v122, v52, v10
	s_waitcnt vmcnt(0)
	v_dual_mul_f32 v10, v36, v27 :: v_dual_fmac_f32 v65, v63, v64
	v_dual_mul_f32 v123, v74, v27 :: v_dual_fmac_f32 v58, v40, v57
	v_fma_f32 v27, v64, v110, -v37
	v_dual_fmac_f32 v67, v49, v66 :: v_dual_fmac_f32 v114, v44, v19
	v_fma_f32 v37, v22, v88, -v69
	v_dual_fmac_f32 v75, v48, v22 :: v_dual_fmac_f32 v118, v42, v13
	v_fmac_f32_e32 v81, v45, v17
	v_fma_f32 v45, v19, v90, -v18
	v_fma_f32 v19, v70, v83, -v116
	v_dual_fmac_f32 v71, v43, v70 :: v_dual_fmac_f32 v122, v38, v9
	v_fma_f32 v43, v13, v82, -v117
	v_fma_f32 v42, v72, v79, -v14
	;; [unrolled: 1-line block ×4, first 2 shown]
	v_dual_sub_f32 v10, v6, v27 :: v_dual_fmac_f32 v123, v36, v26
	v_sub_f32_e32 v26, v33, v81
	v_fma_f32 v23, v46, 2.0, -v15
	v_fma_f32 v46, v29, 2.0, -v50
	v_fma_f32 v29, v66, v89, -v68
	v_dual_fmac_f32 v73, v41, v72 :: v_dual_sub_f32 v18, v54, v37
	v_fmac_f32_e32 v85, v39, v84
	v_dual_sub_f32 v37, v111, v45 :: v_dual_sub_f32 v38, v32, v71
	v_sub_f32_e32 v39, v55, v19
	v_sub_f32_e32 v41, v108, v43
	;; [unrolled: 1-line block ×3, first 2 shown]
	v_dual_sub_f32 v45, v92, v44 :: v_dual_sub_f32 v44, v30, v58
	v_dual_sub_f32 v58, v94, v57 :: v_dual_sub_f32 v57, v28, v123
	;; [unrolled: 1-line block ×3, first 2 shown]
	v_sub_f32_e32 v14, v5, v29
	s_delay_alu instid0(VALU_DEP_3) | instskip(NEXT) | instid1(VALU_DEP_4)
	v_fma_f32 v29, v94, 2.0, -v58
	v_fma_f32 v28, v28, 2.0, -v57
	v_fma_f32 v22, v17, v91, -v80
	v_fma_f32 v20, v47, 2.0, -v7
	v_fma_f32 v47, v95, 2.0, -v51
	;; [unrolled: 1-line block ×3, first 2 shown]
	s_clause 0x5
	global_store_b64 v[3:4], v[28:29], off
	global_store_b64 v[96:97], v[57:58], off offset:3328
	global_store_b64 v[86:87], v[46:47], off
	global_store_b64 v[98:99], v[50:51], off
	;; [unrolled: 1-line block ×4, first 2 shown]
	v_add_co_u32 v3, vcc_lo, v0, v106
	v_fma_f32 v21, v77, 2.0, -v8
	v_sub_f32_e32 v27, v56, v22
	v_lshlrev_b64 v[15:16], 3, v[11:12]
	v_add_nc_u32_e32 v11, 0x5a0, v11
	v_mul_u32_u24_e32 v19, 0x5a0, v115
	v_add_nc_u32_e32 v22, 0x240, v1
	v_add_co_ci_u32_e32 v4, vcc_lo, v2, v107, vcc_lo
	s_clause 0x1
	global_store_b64 v[104:105], v[20:21], off
	global_store_b64 v[3:4], v[7:8], off
	v_lshlrev_b64 v[3:4], 3, v[11:12]
	v_sub_nc_u32_e32 v11, v113, v19
	v_lshrrev_b32_e32 v19, 5, v22
	v_fma_f32 v52, v9, v52, -v121
	v_fma_f32 v48, v84, v53, -v120
	v_dual_sub_f32 v9, v35, v65 :: v_dual_sub_f32 v36, v61, v114
	s_delay_alu instid0(VALU_DEP_4)
	v_mul_hi_u32 v19, 0x5b05b06, v19
	v_dual_sub_f32 v13, v34, v67 :: v_dual_sub_f32 v40, v60, v118
	v_dual_sub_f32 v53, v109, v52 :: v_dual_sub_f32 v52, v59, v122
	v_mad_u32_u24 v11, 0xb40, v115, v11
	v_add_co_u32 v7, vcc_lo, v0, v15
	v_add_co_ci_u32_e32 v8, vcc_lo, v2, v16, vcc_lo
	v_add_co_u32 v3, vcc_lo, v0, v3
	v_fma_f32 v63, v35, 2.0, -v9
	v_fma_f32 v35, v54, 2.0, -v18
	;; [unrolled: 1-line block ×5, first 2 shown]
	v_lshlrev_b64 v[15:16], 3, v[11:12]
	v_add_nc_u32_e32 v11, 0x5a0, v11
	v_mul_u32_u24_e32 v20, 0x5a0, v19
	v_add_nc_u32_e32 v21, 0x2a0, v1
	v_add_co_ci_u32_e32 v4, vcc_lo, v2, v4, vcc_lo
	s_clause 0x1
	global_store_b64 v[7:8], v[59:60], off
	global_store_b64 v[3:4], v[52:53], off
	v_lshlrev_b64 v[3:4], 3, v[11:12]
	v_sub_nc_u32_e32 v11, v22, v20
	v_lshrrev_b32_e32 v20, 5, v21
	v_dual_sub_f32 v49, v112, v48 :: v_dual_add_nc_u32 v22, 0x300, v1
	v_sub_f32_e32 v48, v25, v85
	s_delay_alu instid0(VALU_DEP_4) | instskip(NEXT) | instid1(VALU_DEP_4)
	v_mad_u32_u24 v11, 0xb40, v19, v11
	v_mul_hi_u32 v20, 0x5b05b06, v20
	v_add_co_u32 v7, vcc_lo, v0, v15
	v_add_co_ci_u32_e32 v8, vcc_lo, v2, v16, vcc_lo
	v_add_co_u32 v3, vcc_lo, v0, v3
	v_fma_f32 v70, v112, 2.0, -v49
	v_fma_f32 v69, v25, 2.0, -v48
	v_lshlrev_b64 v[15:16], 3, v[11:12]
	v_add_nc_u32_e32 v11, 0x5a0, v11
	v_mul_u32_u24_e32 v19, 0x5a0, v20
	v_add_co_ci_u32_e32 v4, vcc_lo, v2, v4, vcc_lo
	s_clause 0x1
	global_store_b64 v[7:8], v[69:70], off
	global_store_b64 v[3:4], v[48:49], off
	v_lshlrev_b64 v[3:4], 3, v[11:12]
	v_sub_nc_u32_e32 v11, v21, v19
	v_lshrrev_b32_e32 v19, 5, v22
	v_dual_sub_f32 v17, v62, v75 :: v_dual_sub_f32 v42, v31, v73
	v_add_co_u32 v7, vcc_lo, v0, v15
	s_delay_alu instid0(VALU_DEP_3)
	v_mul_hi_u32 v19, 0x5b05b06, v19
	v_mad_u32_u24 v11, 0xb40, v20, v11
	v_add_co_ci_u32_e32 v8, vcc_lo, v2, v16, vcc_lo
	v_add_co_u32 v3, vcc_lo, v0, v3
	v_fma_f32 v67, v31, 2.0, -v42
	v_fma_f32 v31, v92, 2.0, -v45
	;; [unrolled: 1-line block ×3, first 2 shown]
	v_lshlrev_b64 v[15:16], 3, v[11:12]
	v_add_nc_u32_e32 v11, 0x5a0, v11
	v_mul_u32_u24_e32 v20, 0x5a0, v19
	v_add_nc_u32_e32 v21, 0x360, v1
	v_add_co_ci_u32_e32 v4, vcc_lo, v2, v4, vcc_lo
	s_clause 0x1
	global_store_b64 v[7:8], v[30:31], off
	global_store_b64 v[3:4], v[44:45], off
	v_lshlrev_b64 v[3:4], 3, v[11:12]
	v_sub_nc_u32_e32 v11, v22, v20
	v_lshrrev_b32_e32 v20, 5, v21
	v_add_co_u32 v7, vcc_lo, v0, v15
	v_add_co_ci_u32_e32 v8, vcc_lo, v2, v16, vcc_lo
	s_delay_alu instid0(VALU_DEP_3) | instskip(SKIP_4) | instid1(VALU_DEP_4)
	v_mul_hi_u32 v20, 0x5b05b06, v20
	v_mad_u32_u24 v11, 0xb40, v19, v11
	v_add_co_u32 v3, vcc_lo, v0, v3
	v_fma_f32 v68, v93, 2.0, -v43
	v_add_nc_u32_e32 v22, 0x3c0, v1
	v_lshlrev_b64 v[15:16], 3, v[11:12]
	v_add_nc_u32_e32 v11, 0x5a0, v11
	v_mul_u32_u24_e32 v19, 0x5a0, v20
	v_add_co_ci_u32_e32 v4, vcc_lo, v2, v4, vcc_lo
	s_clause 0x1
	global_store_b64 v[7:8], v[67:68], off
	global_store_b64 v[3:4], v[42:43], off
	v_lshlrev_b64 v[3:4], 3, v[11:12]
	v_sub_nc_u32_e32 v11, v21, v19
	v_lshrrev_b32_e32 v19, 5, v22
	v_add_co_u32 v7, vcc_lo, v0, v15
	v_add_co_ci_u32_e32 v8, vcc_lo, v2, v16, vcc_lo
	s_delay_alu instid0(VALU_DEP_4) | instskip(NEXT) | instid1(VALU_DEP_4)
	v_mad_u32_u24 v11, 0xb40, v20, v11
	v_mul_hi_u32 v19, 0x5b05b06, v19
	v_add_nc_u32_e32 v20, 0x420, v1
	v_add_co_u32 v3, vcc_lo, v0, v3
	v_fma_f32 v65, v33, 2.0, -v26
	v_fma_f32 v33, v55, 2.0, -v39
	s_delay_alu instid0(VALU_DEP_4)
	v_lshrrev_b32_e32 v21, 5, v20
	v_fma_f32 v55, v108, 2.0, -v41
	v_lshlrev_b64 v[15:16], 3, v[11:12]
	v_add_nc_u32_e32 v11, 0x5a0, v11
	v_mul_u32_u24_e32 v23, 0x5a0, v19
	v_add_co_ci_u32_e32 v4, vcc_lo, v2, v4, vcc_lo
	v_mul_hi_u32 v21, 0x5b05b06, v21
	s_clause 0x1
	global_store_b64 v[7:8], v[54:55], off
	global_store_b64 v[3:4], v[40:41], off
	v_lshlrev_b64 v[3:4], 3, v[11:12]
	v_sub_nc_u32_e32 v11, v22, v23
	v_add_nc_u32_e32 v22, 0x480, v1
	v_add_co_u32 v7, vcc_lo, v0, v15
	v_add_co_ci_u32_e32 v8, vcc_lo, v2, v16, vcc_lo
	s_delay_alu instid0(VALU_DEP_4) | instskip(SKIP_3) | instid1(VALU_DEP_4)
	v_mad_u32_u24 v11, 0xb40, v19, v11
	v_mul_u32_u24_e32 v19, 0x5a0, v21
	v_add_co_u32 v3, vcc_lo, v0, v3
	v_fma_f32 v32, v32, 2.0, -v38
	v_lshlrev_b64 v[15:16], 3, v[11:12]
	v_add_nc_u32_e32 v11, 0x5a0, v11
	v_sub_nc_u32_e32 v19, v20, v19
	v_lshrrev_b32_e32 v20, 5, v22
	v_add_co_ci_u32_e32 v4, vcc_lo, v2, v4, vcc_lo
	s_clause 0x1
	global_store_b64 v[7:8], v[32:33], off
	global_store_b64 v[3:4], v[38:39], off
	v_lshlrev_b64 v[3:4], 3, v[11:12]
	v_mad_u32_u24 v11, 0xb40, v21, v19
	v_mul_hi_u32 v21, 0x5b05b06, v20
	v_add_nc_u32_e32 v23, 0x4e0, v1
	v_add_co_u32 v7, vcc_lo, v0, v15
	v_add_co_ci_u32_e32 v8, vcc_lo, v2, v16, vcc_lo
	s_delay_alu instid0(VALU_DEP_3)
	v_lshrrev_b32_e32 v25, 5, v23
	v_lshlrev_b64 v[15:16], 3, v[11:12]
	v_add_nc_u32_e32 v11, 0x5a0, v11
	v_mul_u32_u24_e32 v24, 0x5a0, v21
	v_add_nc_u32_e32 v1, 0x540, v1
	v_mul_hi_u32 v25, 0x5b05b06, v25
	v_add_co_u32 v3, vcc_lo, v0, v3
	v_lshlrev_b64 v[19:20], 3, v[11:12]
	v_sub_nc_u32_e32 v11, v22, v24
	v_lshrrev_b32_e32 v28, 5, v1
	v_add_co_ci_u32_e32 v4, vcc_lo, v2, v4, vcc_lo
	v_mul_u32_u24_e32 v24, 0x5a0, v25
	s_delay_alu instid0(VALU_DEP_4) | instskip(NEXT) | instid1(VALU_DEP_4)
	v_mad_u32_u24 v11, 0xb40, v21, v11
	v_mul_hi_u32 v28, 0x5b05b06, v28
	v_add_co_u32 v15, vcc_lo, v0, v15
	v_fma_f32 v64, v6, 2.0, -v10
	v_fma_f32 v6, v5, 2.0, -v14
	;; [unrolled: 1-line block ×6, first 2 shown]
	v_add_co_ci_u32_e32 v16, vcc_lo, v2, v16, vcc_lo
	v_lshlrev_b64 v[21:22], 3, v[11:12]
	v_add_nc_u32_e32 v11, 0x5a0, v11
	v_sub_nc_u32_e32 v23, v23, v24
	v_add_co_u32 v19, vcc_lo, v0, v19
	v_fma_f32 v66, v56, 2.0, -v27
	v_add_co_ci_u32_e32 v20, vcc_lo, v2, v20, vcc_lo
	s_clause 0x3
	global_store_b64 v[7:8], v[61:62], off
	global_store_b64 v[3:4], v[36:37], off
	;; [unrolled: 1-line block ×4, first 2 shown]
	v_lshlrev_b64 v[3:4], 3, v[11:12]
	v_mad_u32_u24 v11, 0xb40, v25, v23
	v_mul_u32_u24_e32 v19, 0x5a0, v28
	v_add_co_u32 v7, vcc_lo, v0, v21
	v_add_co_ci_u32_e32 v8, vcc_lo, v2, v22, vcc_lo
	s_delay_alu instid0(VALU_DEP_4) | instskip(SKIP_4) | instid1(VALU_DEP_4)
	v_lshlrev_b64 v[15:16], 3, v[11:12]
	v_add_nc_u32_e32 v11, 0x5a0, v11
	v_sub_nc_u32_e32 v1, v1, v19
	v_add_co_u32 v3, vcc_lo, v0, v3
	v_add_co_ci_u32_e32 v4, vcc_lo, v2, v4, vcc_lo
	v_lshlrev_b64 v[19:20], 3, v[11:12]
	s_delay_alu instid0(VALU_DEP_4) | instskip(SKIP_2) | instid1(VALU_DEP_3)
	v_mad_u32_u24 v11, 0xb40, v28, v1
	v_add_co_u32 v15, vcc_lo, v0, v15
	v_add_co_ci_u32_e32 v16, vcc_lo, v2, v16, vcc_lo
	v_lshlrev_b64 v[21:22], 3, v[11:12]
	v_add_nc_u32_e32 v11, 0x5a0, v11
	v_add_co_u32 v19, vcc_lo, v0, v19
	v_add_co_ci_u32_e32 v20, vcc_lo, v2, v20, vcc_lo
	s_delay_alu instid0(VALU_DEP_3) | instskip(SKIP_2) | instid1(VALU_DEP_3)
	v_lshlrev_b64 v[11:12], 3, v[11:12]
	v_add_co_u32 v21, vcc_lo, v0, v21
	v_add_co_ci_u32_e32 v22, vcc_lo, v2, v22, vcc_lo
	v_add_co_u32 v0, vcc_lo, v0, v11
	s_delay_alu instid0(VALU_DEP_4)
	v_add_co_ci_u32_e32 v1, vcc_lo, v2, v12, vcc_lo
	s_clause 0x5
	global_store_b64 v[7:8], v[34:35], off
	global_store_b64 v[3:4], v[17:18], off
	;; [unrolled: 1-line block ×6, first 2 shown]
.LBB0_15:
	s_nop 0
	s_sendmsg sendmsg(MSG_DEALLOC_VGPRS)
	s_endpgm
	.section	.rodata,"a",@progbits
	.p2align	6, 0x0
	.amdhsa_kernel fft_rtc_back_len2880_factors_10_6_6_2_2_2_wgs_96_tpt_96_halfLds_sp_op_CI_CI_unitstride_sbrr_dirReg
		.amdhsa_group_segment_fixed_size 0
		.amdhsa_private_segment_fixed_size 0
		.amdhsa_kernarg_size 104
		.amdhsa_user_sgpr_count 15
		.amdhsa_user_sgpr_dispatch_ptr 0
		.amdhsa_user_sgpr_queue_ptr 0
		.amdhsa_user_sgpr_kernarg_segment_ptr 1
		.amdhsa_user_sgpr_dispatch_id 0
		.amdhsa_user_sgpr_private_segment_size 0
		.amdhsa_wavefront_size32 1
		.amdhsa_uses_dynamic_stack 0
		.amdhsa_enable_private_segment 0
		.amdhsa_system_sgpr_workgroup_id_x 1
		.amdhsa_system_sgpr_workgroup_id_y 0
		.amdhsa_system_sgpr_workgroup_id_z 0
		.amdhsa_system_sgpr_workgroup_info 0
		.amdhsa_system_vgpr_workitem_id 0
		.amdhsa_next_free_vgpr 139
		.amdhsa_next_free_sgpr 27
		.amdhsa_reserve_vcc 1
		.amdhsa_float_round_mode_32 0
		.amdhsa_float_round_mode_16_64 0
		.amdhsa_float_denorm_mode_32 3
		.amdhsa_float_denorm_mode_16_64 3
		.amdhsa_dx10_clamp 1
		.amdhsa_ieee_mode 1
		.amdhsa_fp16_overflow 0
		.amdhsa_workgroup_processor_mode 1
		.amdhsa_memory_ordered 1
		.amdhsa_forward_progress 0
		.amdhsa_shared_vgpr_count 0
		.amdhsa_exception_fp_ieee_invalid_op 0
		.amdhsa_exception_fp_denorm_src 0
		.amdhsa_exception_fp_ieee_div_zero 0
		.amdhsa_exception_fp_ieee_overflow 0
		.amdhsa_exception_fp_ieee_underflow 0
		.amdhsa_exception_fp_ieee_inexact 0
		.amdhsa_exception_int_div_zero 0
	.end_amdhsa_kernel
	.text
.Lfunc_end0:
	.size	fft_rtc_back_len2880_factors_10_6_6_2_2_2_wgs_96_tpt_96_halfLds_sp_op_CI_CI_unitstride_sbrr_dirReg, .Lfunc_end0-fft_rtc_back_len2880_factors_10_6_6_2_2_2_wgs_96_tpt_96_halfLds_sp_op_CI_CI_unitstride_sbrr_dirReg
                                        ; -- End function
	.section	.AMDGPU.csdata,"",@progbits
; Kernel info:
; codeLenInByte = 19184
; NumSgprs: 29
; NumVgprs: 139
; ScratchSize: 0
; MemoryBound: 0
; FloatMode: 240
; IeeeMode: 1
; LDSByteSize: 0 bytes/workgroup (compile time only)
; SGPRBlocks: 3
; VGPRBlocks: 17
; NumSGPRsForWavesPerEU: 29
; NumVGPRsForWavesPerEU: 139
; Occupancy: 10
; WaveLimiterHint : 1
; COMPUTE_PGM_RSRC2:SCRATCH_EN: 0
; COMPUTE_PGM_RSRC2:USER_SGPR: 15
; COMPUTE_PGM_RSRC2:TRAP_HANDLER: 0
; COMPUTE_PGM_RSRC2:TGID_X_EN: 1
; COMPUTE_PGM_RSRC2:TGID_Y_EN: 0
; COMPUTE_PGM_RSRC2:TGID_Z_EN: 0
; COMPUTE_PGM_RSRC2:TIDIG_COMP_CNT: 0
	.text
	.p2alignl 7, 3214868480
	.fill 96, 4, 3214868480
	.type	__hip_cuid_2dd1cb01b4a6bb85,@object ; @__hip_cuid_2dd1cb01b4a6bb85
	.section	.bss,"aw",@nobits
	.globl	__hip_cuid_2dd1cb01b4a6bb85
__hip_cuid_2dd1cb01b4a6bb85:
	.byte	0                               ; 0x0
	.size	__hip_cuid_2dd1cb01b4a6bb85, 1

	.ident	"AMD clang version 19.0.0git (https://github.com/RadeonOpenCompute/llvm-project roc-6.4.0 25133 c7fe45cf4b819c5991fe208aaa96edf142730f1d)"
	.section	".note.GNU-stack","",@progbits
	.addrsig
	.addrsig_sym __hip_cuid_2dd1cb01b4a6bb85
	.amdgpu_metadata
---
amdhsa.kernels:
  - .args:
      - .actual_access:  read_only
        .address_space:  global
        .offset:         0
        .size:           8
        .value_kind:     global_buffer
      - .offset:         8
        .size:           8
        .value_kind:     by_value
      - .actual_access:  read_only
        .address_space:  global
        .offset:         16
        .size:           8
        .value_kind:     global_buffer
      - .actual_access:  read_only
        .address_space:  global
        .offset:         24
        .size:           8
        .value_kind:     global_buffer
      - .actual_access:  read_only
        .address_space:  global
        .offset:         32
        .size:           8
        .value_kind:     global_buffer
      - .offset:         40
        .size:           8
        .value_kind:     by_value
      - .actual_access:  read_only
        .address_space:  global
        .offset:         48
        .size:           8
        .value_kind:     global_buffer
      - .actual_access:  read_only
        .address_space:  global
        .offset:         56
        .size:           8
        .value_kind:     global_buffer
      - .offset:         64
        .size:           4
        .value_kind:     by_value
      - .actual_access:  read_only
        .address_space:  global
        .offset:         72
        .size:           8
        .value_kind:     global_buffer
      - .actual_access:  read_only
        .address_space:  global
        .offset:         80
        .size:           8
        .value_kind:     global_buffer
      - .actual_access:  read_only
        .address_space:  global
        .offset:         88
        .size:           8
        .value_kind:     global_buffer
      - .actual_access:  write_only
        .address_space:  global
        .offset:         96
        .size:           8
        .value_kind:     global_buffer
    .group_segment_fixed_size: 0
    .kernarg_segment_align: 8
    .kernarg_segment_size: 104
    .language:       OpenCL C
    .language_version:
      - 2
      - 0
    .max_flat_workgroup_size: 96
    .name:           fft_rtc_back_len2880_factors_10_6_6_2_2_2_wgs_96_tpt_96_halfLds_sp_op_CI_CI_unitstride_sbrr_dirReg
    .private_segment_fixed_size: 0
    .sgpr_count:     29
    .sgpr_spill_count: 0
    .symbol:         fft_rtc_back_len2880_factors_10_6_6_2_2_2_wgs_96_tpt_96_halfLds_sp_op_CI_CI_unitstride_sbrr_dirReg.kd
    .uniform_work_group_size: 1
    .uses_dynamic_stack: false
    .vgpr_count:     139
    .vgpr_spill_count: 0
    .wavefront_size: 32
    .workgroup_processor_mode: 1
amdhsa.target:   amdgcn-amd-amdhsa--gfx1100
amdhsa.version:
  - 1
  - 2
...

	.end_amdgpu_metadata
